;; amdgpu-corpus repo=zjin-lcf/HeCBench kind=compiled arch=gfx906 opt=O3
	.amdgcn_target "amdgcn-amd-amdhsa--gfx906"
	.amdhsa_code_object_version 6
	.text
	.protected	_Z11cool_kernelidPKdPdi ; -- Begin function _Z11cool_kernelidPKdPdi
	.globl	_Z11cool_kernelidPKdPdi
	.p2align	8
	.type	_Z11cool_kernelidPKdPdi,@function
_Z11cool_kernelidPKdPdi:                ; @_Z11cool_kernelidPKdPdi
; %bb.0:
	s_mov_b64 s[82:83], s[2:3]
	s_mov_b64 s[80:81], s[0:1]
	s_load_dword s0, s[4:5], 0x34
	s_load_dword s1, s[4:5], 0x0
	s_add_u32 s80, s80, s7
	s_addc_u32 s81, s81, 0
	s_waitcnt lgkmcnt(0)
	s_and_b32 s0, s0, 0xffff
	s_mul_i32 s6, s6, s0
	v_add_u32_e32 v0, s6, v0
	v_cmp_gt_i32_e32 vcc, s1, v0
	s_and_saveexec_b64 s[0:1], vcc
	s_cbranch_execz .LBB0_8
; %bb.1:
	s_load_dwordx4 s[16:19], s[4:5], 0x8
	s_load_dwordx2 s[14:15], s[4:5], 0x18
	s_load_dword s33, s[4:5], 0x20
	v_ashrrev_i32_e32 v1, 31, v0
	v_lshlrev_b64 v[3:4], 3, v[0:1]
	s_waitcnt lgkmcnt(0)
	v_mov_b32_e32 v0, s19
	v_add_co_u32_e32 v2, vcc, s18, v3
	buffer_store_dword v3, off, s[80:83], 0 ; 4-byte Folded Spill
	s_nop 0
	buffer_store_dword v4, off, s[80:83], 0 offset:4 ; 4-byte Folded Spill
	s_mov_b32 s52, 0
	s_brev_b32 s53, 8
	v_mov_b32_e32 v40, 0x100
	v_mov_b32_e32 v38, 0xffffff80
	;; [unrolled: 1-line block ×4, first 2 shown]
	s_mov_b32 s6, 0x55555555
	s_mov_b32 s7, 0x3fe55555
	;; [unrolled: 1-line block ×58, first 2 shown]
	v_mov_b32_e32 v48, 0x7ff00000
	s_brev_b32 s78, -2
	s_mov_b32 s50, 0x9999999a
	s_mov_b32 s51, 0xc1116a5d
	s_mov_b64 s[18:19], 0
	v_addc_co_u32_e32 v3, vcc, v0, v4, vcc
	global_load_dwordx2 v[6:7], v[2:3], off
	s_waitcnt vmcnt(0)
	v_cmp_gt_f64_e32 vcc, s[52:53], v[6:7]
	v_cmp_eq_f64_e64 s[8:9], 1.0, v[6:7]
	v_frexp_exp_i32_f64_e32 v58, v[6:7]
	v_cndmask_b32_e32 v0, 0, v40, vcc
	v_ldexp_f64 v[2:3], v[6:7], v0
	v_cndmask_b32_e32 v0, 0, v38, vcc
	v_rsq_f64_e32 v[4:5], v[2:3]
	v_cmp_class_f64_e32 vcc, v[2:3], v39
	v_mul_f64 v[8:9], v[2:3], v[4:5]
	v_mul_f64 v[4:5], v[4:5], 0.5
	v_fma_f64 v[10:11], -v[4:5], v[8:9], 0.5
	v_fma_f64 v[8:9], v[8:9], v[10:11], v[8:9]
	v_fma_f64 v[4:5], v[4:5], v[10:11], v[4:5]
	v_fma_f64 v[12:13], -v[8:9], v[8:9], v[2:3]
	v_fma_f64 v[8:9], v[12:13], v[4:5], v[8:9]
	v_fma_f64 v[10:11], -v[8:9], v[8:9], v[2:3]
	v_fma_f64 v[4:5], v[10:11], v[4:5], v[8:9]
	v_ldexp_f64 v[4:5], v[4:5], v0
	v_mov_b32_e32 v0, 0xbfc99999
	v_cndmask_b32_e32 v3, v5, v3, vcc
	v_cndmask_b32_e32 v2, v4, v2, vcc
	v_div_scale_f64 v[4:5], s[0:1], v[2:3], v[2:3], 1.0
	s_mov_b32 s0, 0
	s_mov_b32 s1, 0x408f4000
	v_rcp_f64_e32 v[8:9], v[4:5]
	v_fma_f64 v[10:11], -v[4:5], v[8:9], 1.0
	v_fma_f64 v[8:9], v[8:9], v[10:11], v[8:9]
	v_fma_f64 v[10:11], -v[4:5], v[8:9], 1.0
	v_fma_f64 v[8:9], v[8:9], v[10:11], v[8:9]
	v_div_scale_f64 v[10:11], vcc, 1.0, v[2:3], 1.0
	v_mul_f64 v[12:13], v[10:11], v[8:9]
	v_fma_f64 v[4:5], -v[4:5], v[12:13], v[10:11]
	s_nop 1
	v_div_fmas_f64 v[4:5], v[4:5], v[8:9], v[12:13]
	v_div_fixup_f64 v[22:23], v[4:5], v[2:3], 1.0
	v_div_scale_f64 v[4:5], s[2:3], s[0:1], s[0:1], v[6:7]
	v_mul_f64 v[8:9], v[22:23], s[54:55]
	s_movk_i32 s55, 0x204
	v_rcp_f64_e32 v[10:11], v[4:5]
	v_fma_f64 v[12:13], -v[4:5], v[10:11], 1.0
	v_fma_f64 v[10:11], v[10:11], v[12:13], v[10:11]
	v_fma_f64 v[12:13], -v[4:5], v[10:11], 1.0
	v_fma_f64 v[10:11], v[10:11], v[12:13], v[10:11]
	v_div_scale_f64 v[12:13], vcc, v[6:7], s[0:1], v[6:7]
	v_mul_f64 v[14:15], v[12:13], v[10:11]
	v_fma_f64 v[4:5], -v[4:5], v[14:15], v[12:13]
	s_nop 1
	v_div_fmas_f64 v[4:5], v[4:5], v[10:11], v[14:15]
	v_div_fixup_f64 v[4:5], v[4:5], s[0:1], v[6:7]
	s_mov_b32 s0, 0x968915a9
	s_mov_b32 s1, 0x3fba6564
	v_cmp_eq_f64_e32 vcc, 1.0, v[4:5]
	v_frexp_mant_f64_e64 v[10:11], |v[4:5]|
	v_cmp_gt_f64_e64 s[2:3], 0, v[4:5]
	v_cndmask_b32_e32 v13, v0, v32, vcc
	v_mov_b32_e32 v0, 0x9999999a
	v_cndmask_b32_e64 v12, v0, 0, vcc
	v_cmp_gt_f64_e32 vcc, s[6:7], v[10:11]
	v_frexp_exp_i32_f64_e32 v0, v[4:5]
	v_cmp_gt_f64_e64 s[4:5], 0, v[12:13]
	v_cndmask_b32_e64 v1, 0, 1, vcc
	v_ldexp_f64 v[10:11], v[10:11], v1
	v_subbrev_co_u32_e32 v0, vcc, 0, v0, vcc
	v_add_f64 v[16:17], v[10:11], 1.0
	v_add_f64 v[14:15], v[10:11], -1.0
	v_add_f64 v[18:19], v[16:17], -1.0
	v_add_f64 v[10:11], v[10:11], -v[18:19]
	v_rcp_f64_e32 v[18:19], v[16:17]
	v_fma_f64 v[20:21], -v[16:17], v[18:19], 1.0
	v_fma_f64 v[18:19], v[20:21], v[18:19], v[18:19]
	v_fma_f64 v[20:21], -v[16:17], v[18:19], 1.0
	v_fma_f64 v[18:19], v[20:21], v[18:19], v[18:19]
	v_mul_f64 v[20:21], v[14:15], v[18:19]
	v_mul_f64 v[24:25], v[16:17], v[20:21]
	v_fma_f64 v[16:17], v[20:21], v[16:17], -v[24:25]
	v_fma_f64 v[10:11], v[20:21], v[10:11], v[16:17]
	v_add_f64 v[16:17], v[24:25], v[10:11]
	v_add_f64 v[26:27], v[14:15], -v[16:17]
	v_add_f64 v[24:25], v[16:17], -v[24:25]
	;; [unrolled: 1-line block ×5, first 2 shown]
	v_add_f64 v[10:11], v[10:11], v[14:15]
	v_add_f64 v[10:11], v[26:27], v[10:11]
	v_cvt_f64_i32_e32 v[26:27], v0
	v_mul_f64 v[28:29], v[26:27], s[74:75]
	v_mul_f64 v[10:11], v[18:19], v[10:11]
	v_fma_f64 v[30:31], v[26:27], s[74:75], -v[28:29]
	v_add_f64 v[14:15], v[20:21], v[10:11]
	v_fma_f64 v[26:27], v[26:27], s[76:77], v[30:31]
	v_add_f64 v[16:17], v[14:15], -v[20:21]
	v_add_f64 v[30:31], v[28:29], v[26:27]
	v_add_f64 v[16:17], v[10:11], -v[16:17]
	v_mul_f64 v[10:11], v[14:15], v[14:15]
	v_add_f64 v[28:29], v[30:31], -v[28:29]
	v_add_f64 v[20:21], v[16:17], v[16:17]
	v_fma_f64 v[18:19], v[14:15], v[14:15], -v[10:11]
	v_ldexp_f64 v[33:34], v[16:17], 1
	v_add_f64 v[26:27], v[26:27], -v[28:29]
	v_ldexp_f64 v[28:29], v[14:15], 1
	v_fma_f64 v[18:19], v[14:15], v[20:21], v[18:19]
	v_add_f64 v[20:21], v[10:11], v[18:19]
	v_add_f64 v[10:11], v[20:21], -v[10:11]
	v_mul_f64 v[35:36], v[14:15], v[20:21]
	v_add_f64 v[18:19], v[18:19], -v[10:11]
	v_mov_b32_e32 v11, s1
	v_mov_b32_e32 v10, s0
	v_fma_f64 v[24:25], v[20:21], s[58:59], v[10:11]
	v_fma_f64 v[41:42], v[20:21], v[14:15], -v[35:36]
	s_mov_b32 s0, 0xfca7ab0c
	s_mov_b32 s1, 0x3e928af3
	v_fma_f64 v[24:25], v[20:21], v[24:25], s[60:61]
	v_fma_f64 v[16:17], v[20:21], v[16:17], v[41:42]
	;; [unrolled: 1-line block ×5, first 2 shown]
	v_add_f64 v[16:17], v[35:36], v[14:15]
	v_fma_f64 v[24:25], v[20:21], v[24:25], s[66:67]
	v_add_f64 v[35:36], v[16:17], -v[35:36]
	v_fma_f64 v[24:25], v[20:21], v[24:25], s[70:71]
	v_add_f64 v[14:15], v[14:15], -v[35:36]
	v_fma_f64 v[24:25], v[20:21], v[24:25], s[72:73]
	v_fma_f64 v[24:25], v[20:21], v[24:25], s[68:69]
	v_mul_f64 v[35:36], v[20:21], v[24:25]
	v_fma_f64 v[20:21], v[20:21], v[24:25], -v[35:36]
	v_fma_f64 v[18:19], v[18:19], v[24:25], v[20:21]
	v_add_f64 v[20:21], v[35:36], v[18:19]
	v_add_f64 v[24:25], v[20:21], -v[35:36]
	v_add_f64 v[18:19], v[18:19], -v[24:25]
	v_add_f64 v[24:25], v[20:21], s[6:7]
	v_add_f64 v[18:19], v[18:19], s[56:57]
	;; [unrolled: 1-line block ×3, first 2 shown]
	v_add_f64 v[20:21], v[20:21], -v[35:36]
	v_add_f64 v[18:19], v[18:19], v[20:21]
	v_add_f64 v[20:21], v[24:25], v[18:19]
	v_add_f64 v[24:25], v[24:25], -v[20:21]
	v_add_f64 v[18:19], v[18:19], v[24:25]
	v_mul_f64 v[24:25], v[16:17], v[20:21]
	v_fma_f64 v[35:36], v[16:17], v[20:21], -v[24:25]
	v_fma_f64 v[16:17], v[16:17], v[18:19], v[35:36]
	v_fma_f64 v[14:15], v[14:15], v[20:21], v[16:17]
	v_add_f64 v[16:17], v[24:25], v[14:15]
	v_add_f64 v[18:19], v[16:17], -v[24:25]
	v_add_f64 v[14:15], v[14:15], -v[18:19]
	v_add_f64 v[18:19], v[28:29], v[16:17]
	v_add_f64 v[14:15], v[33:34], v[14:15]
	v_add_f64 v[20:21], v[18:19], -v[28:29]
	v_mov_b32_e32 v33, 0x7ff80000
	v_add_f64 v[16:17], v[16:17], -v[20:21]
	v_add_f64 v[14:15], v[14:15], v[16:17]
	v_add_f64 v[16:17], v[18:19], v[14:15]
	v_add_f64 v[18:19], v[16:17], -v[18:19]
	v_add_f64 v[14:15], v[14:15], -v[18:19]
	v_add_f64 v[18:19], v[30:31], v[16:17]
	v_add_f64 v[20:21], v[18:19], -v[30:31]
	v_add_f64 v[24:25], v[18:19], -v[20:21]
	;; [unrolled: 1-line block ×3, first 2 shown]
	v_add_f64 v[20:21], v[26:27], v[14:15]
	v_add_f64 v[24:25], v[30:31], -v[24:25]
	v_add_f64 v[16:17], v[16:17], v[24:25]
	v_add_f64 v[24:25], v[20:21], -v[26:27]
	;; [unrolled: 2-line block ×3, first 2 shown]
	v_add_f64 v[14:15], v[14:15], -v[24:25]
	v_add_f64 v[20:21], v[18:19], v[16:17]
	v_add_f64 v[26:27], v[26:27], -v[28:29]
	v_add_f64 v[18:19], v[20:21], -v[18:19]
	v_add_f64 v[14:15], v[14:15], v[26:27]
	v_add_f64 v[16:17], v[16:17], -v[18:19]
	v_add_f64 v[14:15], v[14:15], v[16:17]
	v_add_f64 v[16:17], v[20:21], v[14:15]
	v_add_f64 v[18:19], v[16:17], -v[20:21]
	v_add_f64 v[14:15], v[14:15], -v[18:19]
	v_mul_f64 v[18:19], v[12:13], v[16:17]
	v_fma_f64 v[16:17], v[12:13], v[16:17], -v[18:19]
	v_cmp_class_f64_e64 vcc, v[18:19], s55
	v_fma_f64 v[14:15], v[12:13], v[14:15], v[16:17]
	v_add_f64 v[16:17], v[18:19], v[14:15]
	v_add_f64 v[20:21], v[16:17], -v[18:19]
	v_cndmask_b32_e32 v19, v17, v19, vcc
	v_cndmask_b32_e32 v18, v16, v18, vcc
	v_mul_f64 v[16:17], v[18:19], s[48:49]
	v_cmp_neq_f64_e64 vcc, |v[18:19]|, s[12:13]
	v_add_f64 v[14:15], v[14:15], -v[20:21]
	v_rndne_f64_e32 v[20:21], v[16:17]
	v_cndmask_b32_e32 v15, 0, v15, vcc
	v_cndmask_b32_e32 v14, 0, v14, vcc
	v_cmp_nlt_f64_e32 vcc, s[20:21], v[18:19]
	v_fma_f64 v[16:17], v[20:21], s[38:39], v[18:19]
	v_cvt_i32_f64_e32 v0, v[20:21]
	v_fma_f64 v[24:25], v[20:21], s[36:37], v[16:17]
	v_mov_b32_e32 v17, s1
	v_mov_b32_e32 v16, s0
	v_cmp_ngt_f64_e64 s[0:1], s[22:23], v[18:19]
	v_fma_f64 v[26:27], v[24:25], s[30:31], v[16:17]
	v_fma_f64 v[26:27], v[24:25], v[26:27], s[40:41]
	;; [unrolled: 1-line block ×9, first 2 shown]
	v_fma_f64 v[26:27], v[24:25], v[26:27], 1.0
	v_fma_f64 v[24:25], v[24:25], v[26:27], 1.0
	v_ldexp_f64 v[20:21], v[24:25], v0
	v_cndmask_b32_e32 v0, v48, v21, vcc
	s_and_b64 vcc, s[0:1], vcc
	v_cndmask_b32_e32 v18, 0, v20, vcc
	v_cndmask_b32_e64 v19, 0, v0, s[0:1]
	v_fma_f64 v[14:15], v[18:19], v[14:15], v[18:19]
	v_cmp_class_f64_e64 vcc, v[18:19], s55
	v_cndmask_b32_e32 v0, v14, v18, vcc
	v_cndmask_b32_e32 v1, v15, v19, vcc
	v_trunc_f64_e32 v[14:15], v[12:13]
	v_cmp_eq_f64_e32 vcc, v[14:15], v[12:13]
	v_mul_f64 v[14:15], v[12:13], 0.5
	v_trunc_f64_e32 v[18:19], v[14:15]
	v_cmp_neq_f64_e64 s[0:1], v[18:19], v[14:15]
	v_cndmask_b32_e32 v15, 0, v0, vcc
	v_cndmask_b32_e64 v0, v0, v15, s[2:3]
	s_and_b64 s[0:1], vcc, s[0:1]
	v_cndmask_b32_e64 v14, v32, v5, s[0:1]
	v_bfi_b32 v1, s78, v1, v14
	v_cndmask_b32_e32 v14, v33, v1, vcc
	v_cndmask_b32_e64 v1, v1, v14, s[2:3]
	v_cmp_class_f64_e64 s[2:3], v[4:5], s55
	v_cmp_eq_f64_e32 vcc, 0, v[4:5]
	v_cndmask_b32_e64 v13, 0, v5, s[0:1]
	s_mov_b32 s0, 0
	s_mov_b32 s1, 0x412e8480
	s_or_b64 s[2:3], vcc, s[2:3]
	s_xor_b64 s[4:5], vcc, s[4:5]
	v_cmp_o_f64_e32 vcc, v[4:5], v[4:5]
	v_cndmask_b32_e64 v12, v48, 0, s[4:5]
	v_bfi_b32 v12, s78, v12, v13
	v_cndmask_b32_e64 v1, v1, v12, s[2:3]
	v_cndmask_b32_e64 v0, v0, 0, s[2:3]
	v_cmp_gt_f64_e64 s[4:5], 0, v[6:7]
	v_cndmask_b32_e32 v4, 0, v0, vcc
	v_cndmask_b32_e32 v5, v33, v1, vcc
	v_mul_f64 v[12:13], v[8:9], v[4:5]
	v_div_scale_f64 v[8:9], s[2:3], s[0:1], s[0:1], v[6:7]
	v_mov_b32_e32 v0, 0x3fe66666
	v_rcp_f64_e32 v[14:15], v[8:9]
	v_fma_f64 v[18:19], -v[8:9], v[14:15], 1.0
	v_fma_f64 v[14:15], v[14:15], v[18:19], v[14:15]
	v_fma_f64 v[18:19], -v[8:9], v[14:15], 1.0
	v_fma_f64 v[14:15], v[14:15], v[18:19], v[14:15]
	v_div_scale_f64 v[18:19], vcc, v[6:7], s[0:1], v[6:7]
	v_mul_f64 v[20:21], v[18:19], v[14:15]
	v_fma_f64 v[8:9], -v[8:9], v[20:21], v[18:19]
	s_nop 1
	v_div_fmas_f64 v[8:9], v[8:9], v[14:15], v[20:21]
	v_div_fixup_f64 v[8:9], v[8:9], s[0:1], v[6:7]
	v_cmp_eq_f64_e32 vcc, 1.0, v[8:9]
	v_frexp_mant_f64_e64 v[18:19], |v[8:9]|
	v_cmp_gt_f64_e64 s[2:3], 0, v[8:9]
	v_cndmask_b32_e32 v15, v0, v32, vcc
	v_mov_b32_e32 v0, 0x66666666
	v_cndmask_b32_e64 v14, v0, 0, vcc
	v_cmp_gt_f64_e32 vcc, s[6:7], v[18:19]
	v_frexp_exp_i32_f64_e32 v0, v[8:9]
	v_cndmask_b32_e64 v1, 0, 1, vcc
	v_ldexp_f64 v[19:20], v[18:19], v1
	v_subbrev_co_u32_e32 v18, vcc, 0, v0, vcc
	v_add_f64 v[26:27], v[19:20], 1.0
	v_add_f64 v[24:25], v[19:20], -1.0
	v_add_f64 v[28:29], v[26:27], -1.0
	v_add_f64 v[19:20], v[19:20], -v[28:29]
	v_rcp_f64_e32 v[28:29], v[26:27]
	v_fma_f64 v[30:31], -v[26:27], v[28:29], 1.0
	v_fma_f64 v[28:29], v[30:31], v[28:29], v[28:29]
	v_fma_f64 v[30:31], -v[26:27], v[28:29], 1.0
	v_fma_f64 v[28:29], v[30:31], v[28:29], v[28:29]
	v_mul_f64 v[30:31], v[24:25], v[28:29]
	v_mul_f64 v[34:35], v[26:27], v[30:31]
	v_fma_f64 v[26:27], v[30:31], v[26:27], -v[34:35]
	v_fma_f64 v[19:20], v[30:31], v[19:20], v[26:27]
	v_add_f64 v[26:27], v[34:35], v[19:20]
	v_add_f64 v[36:37], v[24:25], -v[26:27]
	v_add_f64 v[34:35], v[26:27], -v[34:35]
	;; [unrolled: 1-line block ×5, first 2 shown]
	v_add_f64 v[19:20], v[19:20], v[24:25]
	v_add_f64 v[19:20], v[36:37], v[19:20]
	v_mul_f64 v[19:20], v[28:29], v[19:20]
	v_add_f64 v[34:35], v[30:31], v[19:20]
	v_add_f64 v[24:25], v[34:35], -v[30:31]
	v_add_f64 v[36:37], v[19:20], -v[24:25]
	v_mul_f64 v[19:20], v[34:35], v[34:35]
	v_add_f64 v[26:27], v[36:37], v[36:37]
	v_fma_f64 v[24:25], v[34:35], v[34:35], -v[19:20]
	v_fma_f64 v[24:25], v[34:35], v[26:27], v[24:25]
	v_ldexp_f64 v[26:27], v[34:35], 1
	v_add_f64 v[28:29], v[19:20], v[24:25]
	v_add_f64 v[19:20], v[28:29], -v[19:20]
	v_mul_f64 v[43:44], v[34:35], v[28:29]
	v_add_f64 v[30:31], v[24:25], -v[19:20]
	v_fma_f64 v[19:20], v[28:29], s[58:59], v[10:11]
	v_fma_f64 v[45:46], v[28:29], v[34:35], -v[43:44]
	v_fma_f64 v[19:20], v[28:29], v[19:20], s[60:61]
	v_fma_f64 v[19:20], v[28:29], v[19:20], s[62:63]
	;; [unrolled: 1-line block ×7, first 2 shown]
	v_cvt_f64_i32_e32 v[18:19], v18
	v_mul_f64 v[24:25], v[18:19], s[74:75]
	v_fma_f64 v[20:21], v[18:19], s[74:75], -v[24:25]
	v_fma_f64 v[18:19], v[18:19], s[76:77], v[20:21]
	v_add_f64 v[20:21], v[24:25], v[18:19]
	v_add_f64 v[24:25], v[20:21], -v[24:25]
	v_add_f64 v[18:19], v[18:19], -v[24:25]
	v_ldexp_f64 v[24:25], v[36:37], 1
	v_fma_f64 v[36:37], v[28:29], v[36:37], v[45:46]
	v_fma_f64 v[34:35], v[30:31], v[34:35], v[36:37]
	v_add_f64 v[36:37], v[43:44], v[34:35]
	v_add_f64 v[43:44], v[36:37], -v[43:44]
	v_add_f64 v[34:35], v[34:35], -v[43:44]
	v_mul_f64 v[43:44], v[28:29], v[41:42]
	v_fma_f64 v[28:29], v[28:29], v[41:42], -v[43:44]
	v_fma_f64 v[28:29], v[30:31], v[41:42], v[28:29]
	v_add_f64 v[30:31], v[43:44], v[28:29]
	v_add_f64 v[41:42], v[30:31], -v[43:44]
	v_add_f64 v[28:29], v[28:29], -v[41:42]
	v_add_f64 v[41:42], v[30:31], s[6:7]
	v_add_f64 v[28:29], v[28:29], s[56:57]
	v_add_f64 v[43:44], v[41:42], s[10:11]
	v_add_f64 v[30:31], v[30:31], -v[43:44]
	v_add_f64 v[28:29], v[28:29], v[30:31]
	v_add_f64 v[30:31], v[41:42], v[28:29]
	v_add_f64 v[41:42], v[41:42], -v[30:31]
	v_add_f64 v[28:29], v[28:29], v[41:42]
	v_mul_f64 v[41:42], v[36:37], v[30:31]
	v_fma_f64 v[43:44], v[36:37], v[30:31], -v[41:42]
	v_fma_f64 v[28:29], v[36:37], v[28:29], v[43:44]
	v_fma_f64 v[28:29], v[34:35], v[30:31], v[28:29]
	v_add_f64 v[30:31], v[41:42], v[28:29]
	v_add_f64 v[34:35], v[30:31], -v[41:42]
	v_add_f64 v[28:29], v[28:29], -v[34:35]
	v_add_f64 v[34:35], v[26:27], v[30:31]
	v_add_f64 v[24:25], v[24:25], v[28:29]
	v_add_f64 v[26:27], v[34:35], -v[26:27]
	v_add_f64 v[26:27], v[30:31], -v[26:27]
	v_add_f64 v[24:25], v[24:25], v[26:27]
	;; [unrolled: 4-line block ×3, first 2 shown]
	v_add_f64 v[30:31], v[28:29], -v[20:21]
	v_add_f64 v[34:35], v[28:29], -v[30:31]
	;; [unrolled: 1-line block ×4, first 2 shown]
	v_add_f64 v[20:21], v[26:27], v[20:21]
	v_add_f64 v[26:27], v[18:19], v[24:25]
	v_add_f64 v[30:31], v[26:27], -v[18:19]
	v_add_f64 v[20:21], v[26:27], v[20:21]
	v_add_f64 v[34:35], v[26:27], -v[30:31]
	v_add_f64 v[24:25], v[24:25], -v[30:31]
	;; [unrolled: 1-line block ×3, first 2 shown]
	v_add_f64 v[18:19], v[24:25], v[18:19]
	v_add_f64 v[24:25], v[28:29], v[20:21]
	v_add_f64 v[26:27], v[24:25], -v[28:29]
	v_add_f64 v[20:21], v[20:21], -v[26:27]
	v_add_f64 v[18:19], v[18:19], v[20:21]
	v_add_f64 v[20:21], v[24:25], v[18:19]
	v_add_f64 v[24:25], v[20:21], -v[24:25]
	v_add_f64 v[18:19], v[18:19], -v[24:25]
	v_mul_f64 v[24:25], v[14:15], v[20:21]
	v_fma_f64 v[20:21], v[14:15], v[20:21], -v[24:25]
	v_cmp_class_f64_e64 vcc, v[24:25], s55
	v_fma_f64 v[18:19], v[14:15], v[18:19], v[20:21]
	v_add_f64 v[20:21], v[24:25], v[18:19]
	v_add_f64 v[26:27], v[20:21], -v[24:25]
	v_cndmask_b32_e32 v21, v21, v25, vcc
	v_cndmask_b32_e32 v20, v20, v24, vcc
	v_mul_f64 v[24:25], v[20:21], s[48:49]
	v_cmp_neq_f64_e64 vcc, |v[20:21]|, s[12:13]
	v_cmp_ngt_f64_e64 s[0:1], s[22:23], v[20:21]
	v_add_f64 v[18:19], v[18:19], -v[26:27]
	v_rndne_f64_e32 v[24:25], v[24:25]
	v_cndmask_b32_e32 v19, 0, v19, vcc
	v_cndmask_b32_e32 v18, 0, v18, vcc
	v_cmp_nlt_f64_e32 vcc, s[20:21], v[20:21]
	v_fma_f64 v[26:27], v[24:25], s[38:39], v[20:21]
	v_cvt_i32_f64_e32 v0, v[24:25]
	v_fma_f64 v[26:27], v[24:25], s[36:37], v[26:27]
	v_fma_f64 v[28:29], v[26:27], s[30:31], v[16:17]
	;; [unrolled: 1-line block ×10, first 2 shown]
	v_fma_f64 v[28:29], v[26:27], v[28:29], 1.0
	v_fma_f64 v[26:27], v[26:27], v[28:29], 1.0
	v_ldexp_f64 v[24:25], v[26:27], v0
	v_cndmask_b32_e32 v0, v48, v25, vcc
	s_and_b64 vcc, s[0:1], vcc
	v_cndmask_b32_e32 v20, 0, v24, vcc
	v_cndmask_b32_e64 v21, 0, v0, s[0:1]
	v_fma_f64 v[18:19], v[20:21], v[18:19], v[20:21]
	v_cmp_class_f64_e64 vcc, v[20:21], s55
	v_cndmask_b32_e32 v0, v18, v20, vcc
	v_cndmask_b32_e32 v1, v19, v21, vcc
	v_trunc_f64_e32 v[18:19], v[14:15]
	v_cmp_eq_f64_e32 vcc, v[18:19], v[14:15]
	v_mul_f64 v[14:15], v[14:15], 0.5
	v_trunc_f64_e32 v[18:19], v[14:15]
	v_cmp_neq_f64_e64 s[0:1], v[18:19], v[14:15]
	s_and_b64 s[0:1], vcc, s[0:1]
	v_cndmask_b32_e64 v14, v32, v9, s[0:1]
	v_bfi_b32 v1, s78, v1, v14
	v_cndmask_b32_e32 v14, 0, v0, vcc
	v_cndmask_b32_e32 v15, v33, v1, vcc
	v_cmp_eq_f64_e32 vcc, 0, v[8:9]
	v_cndmask_b32_e64 v1, v1, v15, s[2:3]
	v_cndmask_b32_e64 v0, v0, v14, s[2:3]
	v_cmp_class_f64_e64 s[2:3], v[8:9], s55
	v_cndmask_b32_e64 v15, 0, v9, s[0:1]
	v_cndmask_b32_e64 v14, v48, 0, vcc
	v_bfi_b32 v15, s78, v14, v15
	s_or_b64 s[2:3], vcc, s[2:3]
	v_cndmask_b32_e64 v14, v0, 0, s[2:3]
	v_cndmask_b32_e64 v15, v1, v15, s[2:3]
	v_add_f64 v[14:15], v[14:15], 1.0
	v_mov_b32_e32 v0, 0xbfe45460
	v_cmp_eq_f64_e64 s[2:3], 0, v[6:7]
	v_div_scale_f64 v[18:19], s[0:1], v[14:15], v[14:15], 1.0
	v_rcp_f64_e32 v[20:21], v[18:19]
	v_fma_f64 v[24:25], -v[18:19], v[20:21], 1.0
	v_fma_f64 v[20:21], v[20:21], v[24:25], v[20:21]
	v_fma_f64 v[24:25], -v[18:19], v[20:21], 1.0
	v_fma_f64 v[20:21], v[20:21], v[24:25], v[20:21]
	v_div_scale_f64 v[24:25], vcc, 1.0, v[14:15], 1.0
	v_mul_f64 v[26:27], v[24:25], v[20:21]
	v_fma_f64 v[18:19], -v[18:19], v[26:27], v[24:25]
	s_nop 1
	v_div_fmas_f64 v[18:19], v[18:19], v[20:21], v[26:27]
	v_cmp_o_f64_e32 vcc, v[8:9], v[8:9]
	v_div_fixup_f64 v[14:15], v[18:19], v[14:15], 1.0
	v_cndmask_b32_e32 v9, v33, v15, vcc
	v_cndmask_b32_e32 v8, 0, v14, vcc
	v_frexp_mant_f64_e64 v[14:15], |v[6:7]|
	v_mul_f64 v[28:29], v[12:13], v[8:9]
	v_cndmask_b32_e64 v13, v0, v32, s[8:9]
	v_mov_b32_e32 v0, 0xaa64c2f8
	v_cndmask_b32_e64 v12, v0, 0, s[8:9]
	v_cmp_gt_f64_e32 vcc, s[6:7], v[14:15]
	v_cndmask_b32_e64 v0, 0, 1, vcc
	v_ldexp_f64 v[18:19], v[14:15], v0
	v_subbrev_co_u32_e32 v14, vcc, 0, v58, vcc
	v_cvt_f64_i32_e32 v[14:15], v14
	v_add_f64 v[24:25], v[18:19], 1.0
	v_add_f64 v[20:21], v[18:19], -1.0
	v_add_f64 v[26:27], v[24:25], -1.0
	v_add_f64 v[18:19], v[18:19], -v[26:27]
	v_rcp_f64_e32 v[26:27], v[24:25]
	v_fma_f64 v[30:31], -v[24:25], v[26:27], 1.0
	v_fma_f64 v[26:27], v[30:31], v[26:27], v[26:27]
	v_fma_f64 v[30:31], -v[24:25], v[26:27], 1.0
	v_fma_f64 v[26:27], v[30:31], v[26:27], v[26:27]
	v_mul_f64 v[30:31], v[20:21], v[26:27]
	v_mul_f64 v[34:35], v[24:25], v[30:31]
	v_fma_f64 v[24:25], v[30:31], v[24:25], -v[34:35]
	v_fma_f64 v[18:19], v[30:31], v[18:19], v[24:25]
	v_add_f64 v[24:25], v[34:35], v[18:19]
	v_add_f64 v[36:37], v[20:21], -v[24:25]
	v_add_f64 v[34:35], v[24:25], -v[34:35]
	;; [unrolled: 1-line block ×5, first 2 shown]
	v_add_f64 v[18:19], v[18:19], v[20:21]
	v_add_f64 v[18:19], v[36:37], v[18:19]
	v_mul_f64 v[18:19], v[26:27], v[18:19]
	v_add_f64 v[20:21], v[30:31], v[18:19]
	v_add_f64 v[24:25], v[20:21], -v[30:31]
	v_add_f64 v[18:19], v[18:19], -v[24:25]
	v_mul_f64 v[24:25], v[20:21], v[20:21]
	v_add_f64 v[30:31], v[18:19], v[18:19]
	v_fma_f64 v[26:27], v[20:21], v[20:21], -v[24:25]
	v_ldexp_f64 v[36:37], v[18:19], 1
	v_fma_f64 v[26:27], v[20:21], v[30:31], v[26:27]
	v_add_f64 v[30:31], v[24:25], v[26:27]
	v_add_f64 v[24:25], v[30:31], -v[24:25]
	v_fma_f64 v[10:11], v[30:31], s[58:59], v[10:11]
	v_mul_f64 v[41:42], v[20:21], v[30:31]
	v_add_f64 v[24:25], v[26:27], -v[24:25]
	v_fma_f64 v[10:11], v[30:31], v[10:11], s[60:61]
	v_mul_f64 v[26:27], v[14:15], s[74:75]
	v_fma_f64 v[43:44], v[30:31], v[20:21], -v[41:42]
	v_fma_f64 v[10:11], v[30:31], v[10:11], s[62:63]
	v_fma_f64 v[34:35], v[14:15], s[74:75], -v[26:27]
	v_fma_f64 v[18:19], v[30:31], v[18:19], v[43:44]
	v_fma_f64 v[10:11], v[30:31], v[10:11], s[64:65]
	;; [unrolled: 1-line block ×5, first 2 shown]
	v_add_f64 v[34:35], v[26:27], v[14:15]
	v_fma_f64 v[10:11], v[30:31], v[10:11], s[70:71]
	v_add_f64 v[26:27], v[34:35], -v[26:27]
	v_fma_f64 v[10:11], v[30:31], v[10:11], s[72:73]
	v_add_f64 v[14:15], v[14:15], -v[26:27]
	v_ldexp_f64 v[26:27], v[20:21], 1
	v_add_f64 v[20:21], v[41:42], v[18:19]
	v_fma_f64 v[10:11], v[30:31], v[10:11], s[68:69]
	v_add_f64 v[41:42], v[20:21], -v[41:42]
	v_add_f64 v[18:19], v[18:19], -v[41:42]
	v_mul_f64 v[41:42], v[30:31], v[10:11]
	v_fma_f64 v[30:31], v[30:31], v[10:11], -v[41:42]
	v_fma_f64 v[10:11], v[24:25], v[10:11], v[30:31]
	v_add_f64 v[24:25], v[41:42], v[10:11]
	v_add_f64 v[30:31], v[24:25], -v[41:42]
	v_add_f64 v[10:11], v[10:11], -v[30:31]
	v_add_f64 v[30:31], v[24:25], s[6:7]
	v_cmp_class_f64_e64 s[6:7], v[6:7], s55
	v_add_f64 v[10:11], v[10:11], s[56:57]
	v_add_f64 v[41:42], v[30:31], s[10:11]
	s_or_b64 s[10:11], s[2:3], s[6:7]
	v_add_f64 v[24:25], v[24:25], -v[41:42]
	v_add_f64 v[10:11], v[10:11], v[24:25]
	v_add_f64 v[24:25], v[30:31], v[10:11]
	v_add_f64 v[30:31], v[30:31], -v[24:25]
	v_add_f64 v[10:11], v[10:11], v[30:31]
	v_mul_f64 v[30:31], v[20:21], v[24:25]
	v_fma_f64 v[41:42], v[20:21], v[24:25], -v[30:31]
	v_fma_f64 v[10:11], v[20:21], v[10:11], v[41:42]
	v_fma_f64 v[10:11], v[18:19], v[24:25], v[10:11]
	v_add_f64 v[18:19], v[30:31], v[10:11]
	v_add_f64 v[20:21], v[18:19], -v[30:31]
	v_add_f64 v[10:11], v[10:11], -v[20:21]
	v_add_f64 v[20:21], v[26:27], v[18:19]
	v_add_f64 v[10:11], v[36:37], v[10:11]
	v_add_f64 v[24:25], v[20:21], -v[26:27]
	v_add_f64 v[18:19], v[18:19], -v[24:25]
	v_add_f64 v[10:11], v[10:11], v[18:19]
	;; [unrolled: 4-line block ×3, first 2 shown]
	v_add_f64 v[24:25], v[20:21], -v[34:35]
	v_add_f64 v[26:27], v[20:21], -v[24:25]
	;; [unrolled: 1-line block ×3, first 2 shown]
	v_add_f64 v[24:25], v[14:15], v[10:11]
	v_add_f64 v[26:27], v[34:35], -v[26:27]
	v_add_f64 v[18:19], v[18:19], v[26:27]
	v_add_f64 v[26:27], v[24:25], -v[14:15]
	v_add_f64 v[30:31], v[24:25], -v[26:27]
	;; [unrolled: 1-line block ×4, first 2 shown]
	v_add_f64 v[10:11], v[10:11], v[14:15]
	v_add_f64 v[14:15], v[24:25], v[18:19]
	;; [unrolled: 1-line block ×3, first 2 shown]
	v_add_f64 v[18:19], v[24:25], -v[20:21]
	v_add_f64 v[14:15], v[14:15], -v[18:19]
	v_add_f64 v[10:11], v[10:11], v[14:15]
	v_add_f64 v[18:19], v[24:25], v[10:11]
	v_add_f64 v[14:15], v[18:19], -v[24:25]
	v_add_f64 v[20:21], v[10:11], -v[14:15]
	v_mul_f64 v[10:11], v[12:13], v[18:19]
	v_fma_f64 v[14:15], v[12:13], v[18:19], -v[10:11]
	v_cmp_class_f64_e64 vcc, v[10:11], s55
	v_fma_f64 v[14:15], v[12:13], v[20:21], v[14:15]
	v_add_f64 v[24:25], v[10:11], v[14:15]
	v_add_f64 v[26:27], v[24:25], -v[10:11]
	v_cndmask_b32_e32 v11, v25, v11, vcc
	v_cndmask_b32_e32 v10, v24, v10, vcc
	v_mul_f64 v[24:25], v[10:11], s[48:49]
	v_cmp_neq_f64_e64 vcc, |v[10:11]|, s[12:13]
	v_cmp_ngt_f64_e64 s[0:1], s[22:23], v[10:11]
	v_add_f64 v[14:15], v[14:15], -v[26:27]
	v_rndne_f64_e32 v[24:25], v[24:25]
	v_cndmask_b32_e32 v15, 0, v15, vcc
	v_cndmask_b32_e32 v14, 0, v14, vcc
	v_cmp_nlt_f64_e32 vcc, s[20:21], v[10:11]
	v_fma_f64 v[26:27], v[24:25], s[38:39], v[10:11]
	v_cvt_i32_f64_e32 v0, v[24:25]
	v_fma_f64 v[26:27], v[24:25], s[36:37], v[26:27]
	v_fma_f64 v[30:31], v[26:27], s[30:31], v[16:17]
	;; [unrolled: 1-line block ×10, first 2 shown]
	v_fma_f64 v[30:31], v[26:27], v[30:31], 1.0
	v_fma_f64 v[26:27], v[26:27], v[30:31], 1.0
	v_ldexp_f64 v[24:25], v[26:27], v0
	v_cndmask_b32_e32 v0, v48, v25, vcc
	s_and_b64 vcc, s[0:1], vcc
	v_cndmask_b32_e32 v10, 0, v24, vcc
	v_cndmask_b32_e64 v11, 0, v0, s[0:1]
	v_fma_f64 v[14:15], v[10:11], v[14:15], v[10:11]
	v_cmp_class_f64_e64 vcc, v[10:11], s55
	v_cndmask_b32_e32 v0, v14, v10, vcc
	v_cndmask_b32_e32 v1, v15, v11, vcc
	v_trunc_f64_e32 v[10:11], v[12:13]
	v_cmp_eq_f64_e32 vcc, v[10:11], v[12:13]
	v_mul_f64 v[10:11], v[12:13], 0.5
	v_trunc_f64_e32 v[14:15], v[10:11]
	v_cmp_neq_f64_e64 s[0:1], v[14:15], v[10:11]
	s_and_b64 s[0:1], vcc, s[0:1]
	v_cndmask_b32_e64 v10, v32, v7, s[0:1]
	v_bfi_b32 v1, s78, v1, v10
	v_cndmask_b32_e32 v10, 0, v0, vcc
	v_cndmask_b32_e32 v11, v33, v1, vcc
	v_cmp_gt_f64_e32 vcc, 0, v[12:13]
	v_cndmask_b32_e64 v1, v1, v11, s[4:5]
	v_cndmask_b32_e64 v0, v0, v10, s[4:5]
	;; [unrolled: 1-line block ×3, first 2 shown]
	v_cmp_u_f64_e64 s[0:1], v[6:7], v[6:7]
	s_xor_b64 s[56:57], s[2:3], vcc
	v_cndmask_b32_e64 v10, v48, 0, s[56:57]
	v_bfi_b32 v11, s78, v10, v11
	s_mov_b32 s56, 0xe361ce4c
	v_cndmask_b32_e64 v10, v0, 0, s[10:11]
	v_cndmask_b32_e64 v11, v1, v11, s[10:11]
	s_mov_b32 s57, 0x3de49da7
	v_mul_f64 v[10:11], v[10:11], s[56:57]
	v_mov_b32_e32 v0, 0xbff80000
	v_cndmask_b32_e64 v31, v11, v33, s[0:1]
	v_cndmask_b32_e64 v30, v10, 0, s[0:1]
	v_cndmask_b32_e64 v11, v0, v32, s[8:9]
	v_mov_b32_e32 v10, 0
	v_mul_f64 v[12:13], v[10:11], v[18:19]
	v_fma_f64 v[14:15], v[10:11], v[18:19], -v[12:13]
	v_cmp_class_f64_e64 vcc, v[12:13], s55
	v_fma_f64 v[14:15], v[10:11], v[20:21], v[14:15]
	v_add_f64 v[24:25], v[12:13], v[14:15]
	v_add_f64 v[26:27], v[24:25], -v[12:13]
	v_cndmask_b32_e32 v13, v25, v13, vcc
	v_cndmask_b32_e32 v12, v24, v12, vcc
	v_mul_f64 v[24:25], v[12:13], s[48:49]
	v_cmp_neq_f64_e64 vcc, |v[12:13]|, s[12:13]
	v_cmp_ngt_f64_e64 s[12:13], s[22:23], v[12:13]
	v_add_f64 v[14:15], v[14:15], -v[26:27]
	v_rndne_f64_e32 v[24:25], v[24:25]
	v_cndmask_b32_e32 v15, 0, v15, vcc
	v_cndmask_b32_e32 v14, 0, v14, vcc
	v_cmp_nlt_f64_e32 vcc, s[20:21], v[12:13]
	v_fma_f64 v[26:27], v[24:25], s[38:39], v[12:13]
	v_cvt_i32_f64_e32 v0, v[24:25]
	v_fma_f64 v[26:27], v[24:25], s[36:37], v[26:27]
	v_fma_f64 v[34:35], v[26:27], s[30:31], v[16:17]
	;; [unrolled: 1-line block ×10, first 2 shown]
	v_fma_f64 v[34:35], v[26:27], v[34:35], 1.0
	v_fma_f64 v[26:27], v[26:27], v[34:35], 1.0
	v_ldexp_f64 v[24:25], v[26:27], v0
	v_cndmask_b32_e32 v0, v48, v25, vcc
	s_and_b64 vcc, s[12:13], vcc
	v_cndmask_b32_e32 v12, 0, v24, vcc
	v_cndmask_b32_e64 v13, 0, v0, s[12:13]
	v_fma_f64 v[14:15], v[12:13], v[14:15], v[12:13]
	v_cmp_class_f64_e64 vcc, v[12:13], s55
	s_mov_b32 s55, 0x3df716f9
	v_mul_f64 v[22:23], v[22:23], s[54:55]
	v_cndmask_b32_e32 v0, v14, v12, vcc
	v_cndmask_b32_e32 v1, v15, v13, vcc
	v_trunc_f64_e32 v[12:13], v[10:11]
	v_mul_f64 v[22:23], v[22:23], v[4:5]
	v_cmp_eq_f64_e32 vcc, v[12:13], v[10:11]
	v_mul_f64 v[12:13], v[10:11], 0.5
	v_trunc_f64_e32 v[14:15], v[12:13]
	v_cmp_neq_f64_e64 s[12:13], v[14:15], v[12:13]
	v_cndmask_b32_e32 v13, 0, v0, vcc
	v_cndmask_b32_e64 v0, v0, v13, s[4:5]
	s_and_b64 s[12:13], vcc, s[12:13]
	v_cndmask_b32_e64 v12, v32, v7, s[12:13]
	v_bfi_b32 v1, s78, v1, v12
	v_cndmask_b32_e32 v12, v33, v1, vcc
	v_cmp_gt_f64_e32 vcc, 0, v[10:11]
	v_cndmask_b32_e64 v11, 0, v7, s[12:13]
	v_cndmask_b32_e64 v1, v1, v12, s[4:5]
	s_or_b64 s[12:13], s[0:1], s[10:11]
	v_cndmask_b32_e64 v0, v0, 0, s[12:13]
	s_mov_b32 s12, 0x77318fc5
	s_mov_b32 s13, 0x3f5f212d
	s_xor_b64 s[56:57], s[2:3], vcc
	v_cndmask_b32_e64 v10, v48, 0, s[56:57]
	v_bfi_b32 v10, s78, v10, v11
	v_cndmask_b32_e64 v1, v1, v10, s[10:11]
	v_cndmask_b32_e64 v1, v1, v33, s[0:1]
	buffer_store_dword v0, off, s[80:83], 0 offset:8 ; 4-byte Folded Spill
	s_nop 0
	buffer_store_dword v1, off, s[80:83], 0 offset:12 ; 4-byte Folded Spill
	v_mul_f64 v[14:15], v[0:1], s[12:13]
	s_mov_b32 s12, 0
	s_mov_b32 s13, 0xc11cafc0
	v_div_scale_f64 v[12:13], s[56:57], v[6:7], v[6:7], s[12:13]
	v_rcp_f64_e32 v[24:25], v[12:13]
	v_fma_f64 v[26:27], -v[12:13], v[24:25], 1.0
	v_fma_f64 v[24:25], v[24:25], v[26:27], v[24:25]
	v_fma_f64 v[26:27], -v[12:13], v[24:25], 1.0
	v_fma_f64 v[24:25], v[24:25], v[26:27], v[24:25]
	v_div_scale_f64 v[26:27], vcc, s[12:13], v[6:7], s[12:13]
	v_mul_f64 v[33:34], v[26:27], v[24:25]
	v_fma_f64 v[12:13], -v[12:13], v[33:34], v[26:27]
	s_nop 1
	v_div_fmas_f64 v[12:13], v[12:13], v[24:25], v[33:34]
	v_div_fixup_f64 v[12:13], v[12:13], v[6:7], s[12:13]
	v_mul_f64 v[24:25], v[12:13], s[48:49]
	v_cmp_nlt_f64_e32 vcc, s[20:21], v[12:13]
	v_cmp_ngt_f64_e64 s[12:13], s[22:23], v[12:13]
	v_rndne_f64_e32 v[24:25], v[24:25]
	v_fma_f64 v[26:27], v[24:25], s[38:39], v[12:13]
	v_cvt_i32_f64_e32 v0, v[24:25]
	v_fma_f64 v[26:27], v[24:25], s[36:37], v[26:27]
	v_fma_f64 v[33:34], v[26:27], s[30:31], v[16:17]
	;; [unrolled: 1-line block ×10, first 2 shown]
	v_fma_f64 v[33:34], v[26:27], v[33:34], 1.0
	v_fma_f64 v[26:27], v[26:27], v[33:34], 1.0
	v_ldexp_f64 v[24:25], v[26:27], v0
	v_cndmask_b32_e32 v0, v48, v25, vcc
	s_and_b64 vcc, s[12:13], vcc
	v_cndmask_b32_e64 v13, 0, v0, s[12:13]
	s_mov_b32 s12, 0
	v_cndmask_b32_e32 v12, 0, v24, vcc
	s_mov_b32 s13, 0xc0f6f300
	v_mul_f64 v[24:25], v[12:13], v[14:15]
	v_div_scale_f64 v[14:15], s[56:57], v[6:7], v[6:7], s[12:13]
	v_rcp_f64_e32 v[26:27], v[14:15]
	v_fma_f64 v[33:34], -v[14:15], v[26:27], 1.0
	v_fma_f64 v[26:27], v[26:27], v[33:34], v[26:27]
	v_fma_f64 v[33:34], -v[14:15], v[26:27], 1.0
	v_fma_f64 v[26:27], v[26:27], v[33:34], v[26:27]
	v_div_scale_f64 v[33:34], vcc, s[12:13], v[6:7], s[12:13]
	v_mul_f64 v[35:36], v[33:34], v[26:27]
	v_fma_f64 v[14:15], -v[14:15], v[35:36], v[33:34]
	s_nop 1
	v_div_fmas_f64 v[14:15], v[14:15], v[26:27], v[35:36]
	v_div_fixup_f64 v[14:15], v[14:15], v[6:7], s[12:13]
	s_mov_b32 s12, 0x33333333
	s_mov_b32 s13, 0x3fd33333
	v_mul_f64 v[26:27], v[14:15], s[48:49]
	v_cmp_nlt_f64_e32 vcc, s[20:21], v[14:15]
	v_rndne_f64_e32 v[26:27], v[26:27]
	v_fma_f64 v[33:34], v[26:27], s[38:39], v[14:15]
	v_cvt_i32_f64_e32 v0, v[26:27]
	v_fma_f64 v[33:34], v[26:27], s[36:37], v[33:34]
	v_fma_f64 v[35:36], v[33:34], s[30:31], v[16:17]
	;; [unrolled: 1-line block ×10, first 2 shown]
	v_fma_f64 v[35:36], v[33:34], v[35:36], 1.0
	v_fma_f64 v[33:34], v[33:34], v[35:36], 1.0
	v_ldexp_f64 v[26:27], v[33:34], v0
	v_fma_f64 v[26:27], v[26:27], s[12:13], 1.0
	v_cmp_ngt_f64_e64 s[12:13], s[22:23], v[14:15]
	v_cndmask_b32_e32 v0, v48, v27, vcc
	s_and_b64 vcc, s[12:13], vcc
	v_cndmask_b32_e64 v15, v32, v0, s[12:13]
	s_mov_b32 s12, 0x5013f7f4
	v_cndmask_b32_e32 v14, 0, v26, vcc
	s_mov_b32 s13, 0x3dd01492
	v_mul_f64 v[34:35], v[14:15], v[24:25]
	v_mul_f64 v[24:25], v[2:3], s[12:13]
	s_mov_b32 s12, 0xcccccccd
	s_mov_b32 s13, 0xc1034388
	v_mul_f64 v[32:33], v[22:23], v[8:9]
	v_div_scale_f64 v[22:23], s[54:55], v[6:7], v[6:7], s[12:13]
	v_rcp_f64_e32 v[26:27], v[22:23]
	v_fma_f64 v[36:37], -v[22:23], v[26:27], 1.0
	v_fma_f64 v[26:27], v[26:27], v[36:37], v[26:27]
	v_fma_f64 v[36:37], -v[22:23], v[26:27], 1.0
	v_fma_f64 v[26:27], v[26:27], v[36:37], v[26:27]
	v_div_scale_f64 v[36:37], vcc, s[12:13], v[6:7], s[12:13]
	v_mul_f64 v[41:42], v[36:37], v[26:27]
	v_fma_f64 v[22:23], -v[22:23], v[41:42], v[36:37]
	s_nop 1
	v_div_fmas_f64 v[22:23], v[22:23], v[26:27], v[41:42]
	v_div_fixup_f64 v[22:23], v[22:23], v[6:7], s[12:13]
	v_mul_f64 v[26:27], v[22:23], s[48:49]
	v_cmp_nlt_f64_e32 vcc, s[20:21], v[22:23]
	v_cmp_ngt_f64_e64 s[12:13], s[22:23], v[22:23]
	v_rndne_f64_e32 v[26:27], v[26:27]
	v_fma_f64 v[36:37], v[26:27], s[38:39], v[22:23]
	v_cvt_i32_f64_e32 v0, v[26:27]
	v_fma_f64 v[36:37], v[26:27], s[36:37], v[36:37]
	v_fma_f64 v[41:42], v[36:37], s[30:31], v[16:17]
	;; [unrolled: 1-line block ×10, first 2 shown]
	v_fma_f64 v[41:42], v[36:37], v[41:42], 1.0
	v_fma_f64 v[36:37], v[36:37], v[41:42], 1.0
	v_ldexp_f64 v[26:27], v[36:37], v0
	v_cndmask_b32_e32 v0, v48, v27, vcc
	s_and_b64 vcc, s[12:13], vcc
	v_cndmask_b32_e64 v23, 0, v0, s[12:13]
	s_mov_b32 s12, 0
	v_cndmask_b32_e32 v22, 0, v26, vcc
	s_mov_b32 s13, 0x40f86a00
	v_mul_f64 v[36:37], v[24:25], v[22:23]
	v_div_scale_f64 v[24:25], s[54:55], s[12:13], s[12:13], v[6:7]
	v_rcp_f64_e32 v[26:27], v[24:25]
	v_fma_f64 v[41:42], -v[24:25], v[26:27], 1.0
	v_fma_f64 v[26:27], v[26:27], v[41:42], v[26:27]
	v_fma_f64 v[41:42], -v[24:25], v[26:27], 1.0
	v_fma_f64 v[26:27], v[26:27], v[41:42], v[26:27]
	v_div_scale_f64 v[41:42], vcc, v[6:7], s[12:13], v[6:7]
	v_mul_f64 v[43:44], v[41:42], v[26:27]
	v_fma_f64 v[24:25], -v[24:25], v[43:44], v[41:42]
	s_nop 1
	v_div_fmas_f64 v[24:25], v[24:25], v[26:27], v[43:44]
	v_div_fixup_f64 v[24:25], v[24:25], s[12:13], v[6:7]
	v_cmp_gt_f64_e32 vcc, s[52:53], v[24:25]
	v_cndmask_b32_e32 v0, 0, v40, vcc
	v_ldexp_f64 v[24:25], v[24:25], v0
	v_cndmask_b32_e32 v0, 0, v38, vcc
	v_rsq_f64_e32 v[26:27], v[24:25]
	v_cmp_class_f64_e32 vcc, v[24:25], v39
	v_mul_f64 v[40:41], v[24:25], v[26:27]
	v_mul_f64 v[26:27], v[26:27], 0.5
	v_fma_f64 v[42:43], -v[26:27], v[40:41], 0.5
	v_fma_f64 v[40:41], v[40:41], v[42:43], v[40:41]
	v_fma_f64 v[26:27], v[26:27], v[42:43], v[26:27]
	v_fma_f64 v[44:45], -v[40:41], v[40:41], v[24:25]
	v_fma_f64 v[40:41], v[44:45], v[26:27], v[40:41]
	v_fma_f64 v[42:43], -v[40:41], v[40:41], v[24:25]
	v_fma_f64 v[26:27], v[42:43], v[26:27], v[40:41]
	v_ldexp_f64 v[26:27], v[26:27], v0
	v_cndmask_b32_e32 v25, v27, v25, vcc
	v_cndmask_b32_e32 v24, v26, v24, vcc
	v_add_f64 v[24:25], v[24:25], 1.0
	v_div_scale_f64 v[26:27], s[12:13], v[24:25], v[24:25], 1.0
	s_mov_b32 s12, 0xbcf44c2d
	s_mov_b32 s13, 0x3dba2b1a
	v_rcp_f64_e32 v[38:39], v[26:27]
	v_fma_f64 v[40:41], -v[26:27], v[38:39], 1.0
	v_fma_f64 v[38:39], v[38:39], v[40:41], v[38:39]
	v_fma_f64 v[40:41], -v[26:27], v[38:39], 1.0
	v_fma_f64 v[38:39], v[38:39], v[40:41], v[38:39]
	v_div_scale_f64 v[40:41], vcc, 1.0, v[24:25], 1.0
	v_mul_f64 v[42:43], v[40:41], v[38:39]
	v_fma_f64 v[26:27], -v[26:27], v[42:43], v[40:41]
	s_nop 1
	v_div_fmas_f64 v[26:27], v[26:27], v[38:39], v[42:43]
	v_mul_f64 v[38:39], v[2:3], s[12:13]
	v_div_fixup_f64 v[24:25], v[26:27], v[24:25], 1.0
	v_div_scale_f64 v[26:27], s[12:13], v[6:7], v[6:7], s[50:51]
	v_fma_f64 v[52:53], v[24:25], v[36:37], v[28:29]
	v_rcp_f64_e32 v[40:41], v[26:27]
	v_fma_f64 v[42:43], -v[26:27], v[40:41], 1.0
	v_fma_f64 v[40:41], v[40:41], v[42:43], v[40:41]
	v_fma_f64 v[42:43], -v[26:27], v[40:41], 1.0
	v_fma_f64 v[40:41], v[40:41], v[42:43], v[40:41]
	v_div_scale_f64 v[42:43], vcc, s[50:51], v[6:7], s[50:51]
	v_mul_f64 v[44:45], v[42:43], v[40:41]
	v_fma_f64 v[26:27], -v[26:27], v[44:45], v[42:43]
	s_nop 1
	v_div_fmas_f64 v[26:27], v[26:27], v[40:41], v[44:45]
	v_div_fixup_f64 v[26:27], v[26:27], v[6:7], s[50:51]
	v_mul_f64 v[40:41], v[26:27], s[48:49]
	v_cmp_nlt_f64_e32 vcc, s[20:21], v[26:27]
	v_cmp_ngt_f64_e64 s[12:13], s[22:23], v[26:27]
	v_rndne_f64_e32 v[40:41], v[40:41]
	v_fma_f64 v[42:43], v[40:41], s[38:39], v[26:27]
	v_cvt_i32_f64_e32 v0, v[40:41]
	v_fma_f64 v[42:43], v[40:41], s[36:37], v[42:43]
	v_fma_f64 v[44:45], v[42:43], s[30:31], v[16:17]
	;; [unrolled: 1-line block ×10, first 2 shown]
	v_fma_f64 v[44:45], v[42:43], v[44:45], 1.0
	v_fma_f64 v[42:43], v[42:43], v[44:45], 1.0
	v_ldexp_f64 v[40:41], v[42:43], v0
	v_cndmask_b32_e32 v0, v48, v41, vcc
	s_and_b64 vcc, s[12:13], vcc
	v_cndmask_b32_e32 v26, 0, v40, vcc
	v_cndmask_b32_e64 v27, 0, v0, s[12:13]
	v_mul_f64 v[38:39], v[38:39], v[26:27]
	s_mov_b32 s12, 0x895acc60
	s_mov_b32 s13, 0x3d98fb1c
	v_mul_f64 v[44:45], v[24:25], v[38:39]
	v_mul_f64 v[38:39], v[2:3], s[12:13]
	s_mov_b32 s12, 0
	s_mov_b32 s13, 0xc12345b6
	v_div_scale_f64 v[46:47], s[50:51], v[6:7], v[6:7], s[12:13]
	v_div_scale_f64 v[49:50], vcc, s[12:13], v[6:7], s[12:13]
	v_rcp_f64_e32 v[40:41], v[46:47]
	v_fma_f64 v[42:43], -v[46:47], v[40:41], 1.0
	v_fma_f64 v[40:41], v[40:41], v[42:43], v[40:41]
	v_fma_f64 v[42:43], -v[46:47], v[40:41], 1.0
	v_fma_f64 v[40:41], v[40:41], v[42:43], v[40:41]
	v_mul_f64 v[42:43], v[49:50], v[40:41]
	v_fma_f64 v[46:47], -v[46:47], v[42:43], v[49:50]
	v_mul_f64 v[50:51], s[16:17], v[28:29]
	v_div_fmas_f64 v[40:41], v[46:47], v[40:41], v[42:43]
	v_div_fixup_f64 v[40:41], v[40:41], v[6:7], s[12:13]
	v_mul_f64 v[42:43], v[40:41], s[48:49]
	v_cmp_nlt_f64_e32 vcc, s[20:21], v[40:41]
	v_cmp_ngt_f64_e64 s[12:13], s[22:23], v[40:41]
	v_rndne_f64_e32 v[42:43], v[42:43]
	v_fma_f64 v[46:47], v[42:43], s[38:39], v[40:41]
	v_cvt_i32_f64_e32 v0, v[42:43]
	v_fma_f64 v[46:47], v[42:43], s[36:37], v[46:47]
	v_fma_f64 v[16:17], v[46:47], s[30:31], v[16:17]
	;; [unrolled: 1-line block ×10, first 2 shown]
	v_fma_f64 v[16:17], v[46:47], v[16:17], 1.0
	v_fma_f64 v[16:17], v[46:47], v[16:17], 1.0
	v_ldexp_f64 v[16:17], v[16:17], v0
	v_cndmask_b32_e32 v0, v48, v17, vcc
	s_and_b64 vcc, s[12:13], vcc
	v_cndmask_b32_e32 v16, 0, v16, vcc
	v_cndmask_b32_e64 v17, 0, v0, s[12:13]
	v_mul_f64 v[38:39], v[38:39], v[16:17]
	v_add_f64 v[48:49], v[30:31], v[34:35]
	s_cmp_eq_u32 s33, 0
	s_cselect_b64 s[20:21], -1, 0
	s_and_b64 vcc, exec, s[20:21]
	v_mul_f64 v[46:47], v[24:25], v[38:39]
	s_cbranch_vccnz .LBB0_5
; %bb.2:
	v_mov_b32_e32 v28, 0xd79435e
	v_mov_b32_e32 v29, 0x3fb435e5
	v_mul_f64 v[42:43], s[16:17], v[28:29]
	v_mov_b32_e32 v31, s17
	s_mov_b32 s12, 0x627a63c3
	s_mov_b32 s22, 0x76710975
	;; [unrolled: 1-line block ×4, first 2 shown]
	v_mov_b32_e32 v59, 19
	v_mov_b32_e32 v30, s16
	s_mov_b32 s13, 0x3d5681ec
	s_mov_b32 s23, 0x3d560707
	;; [unrolled: 1-line block ×4, first 2 shown]
.LBB0_3:                                ; =>This Inner Loop Header: Depth=1
	v_mov_b32_e32 v55, v31
	v_mov_b32_e32 v54, v30
	v_div_scale_f64 v[28:29], s[28:29], v[54:55], v[54:55], s[12:13]
	v_rcp_f64_e32 v[30:31], v[28:29]
	v_fma_f64 v[34:35], -v[28:29], v[30:31], 1.0
	v_fma_f64 v[30:31], v[30:31], v[34:35], v[30:31]
	v_fma_f64 v[34:35], -v[28:29], v[30:31], 1.0
	v_fma_f64 v[30:31], v[30:31], v[34:35], v[30:31]
	v_div_scale_f64 v[34:35], vcc, s[12:13], v[54:55], s[12:13]
	v_mul_f64 v[36:37], v[34:35], v[30:31]
	v_fma_f64 v[28:29], -v[28:29], v[36:37], v[34:35]
	s_nop 1
	v_div_fmas_f64 v[28:29], v[28:29], v[30:31], v[36:37]
	v_div_fixup_f64 v[28:29], v[28:29], v[54:55], s[12:13]
	v_add_f64 v[28:29], v[52:53], v[28:29]
	v_div_scale_f64 v[30:31], s[28:29], v[28:29], v[28:29], v[50:51]
	v_rcp_f64_e32 v[34:35], v[30:31]
	v_fma_f64 v[36:37], -v[30:31], v[34:35], 1.0
	v_fma_f64 v[34:35], v[34:35], v[36:37], v[34:35]
	v_fma_f64 v[36:37], -v[30:31], v[34:35], 1.0
	v_fma_f64 v[34:35], v[34:35], v[36:37], v[34:35]
	v_div_scale_f64 v[36:37], vcc, v[50:51], v[28:29], v[50:51]
	v_mul_f64 v[38:39], v[36:37], v[34:35]
	v_fma_f64 v[30:31], -v[30:31], v[38:39], v[36:37]
	s_nop 1
	v_div_fmas_f64 v[30:31], v[30:31], v[34:35], v[38:39]
	v_div_fixup_f64 v[34:35], v[30:31], v[28:29], v[50:51]
	v_div_scale_f64 v[30:31], s[28:29], v[54:55], v[54:55], s[22:23]
	v_add_f64 v[28:29], s[16:17], -v[34:35]
	v_rcp_f64_e32 v[36:37], v[30:31]
	v_fma_f64 v[38:39], -v[30:31], v[36:37], 1.0
	v_fma_f64 v[36:37], v[36:37], v[38:39], v[36:37]
	v_fma_f64 v[38:39], -v[30:31], v[36:37], 1.0
	v_fma_f64 v[36:37], v[36:37], v[38:39], v[36:37]
	v_div_scale_f64 v[38:39], vcc, s[22:23], v[54:55], s[22:23]
	v_mul_f64 v[40:41], v[38:39], v[36:37]
	v_fma_f64 v[30:31], -v[30:31], v[40:41], v[38:39]
	s_nop 1
	v_div_fmas_f64 v[30:31], v[30:31], v[36:37], v[40:41]
	v_div_fixup_f64 v[30:31], v[30:31], v[54:55], s[22:23]
	v_add_f64 v[56:57], v[44:45], v[30:31]
	v_div_scale_f64 v[30:31], s[28:29], v[56:57], v[56:57], v[48:49]
	v_rcp_f64_e32 v[36:37], v[30:31]
	v_fma_f64 v[38:39], -v[30:31], v[36:37], 1.0
	v_fma_f64 v[36:37], v[36:37], v[38:39], v[36:37]
	v_fma_f64 v[38:39], -v[30:31], v[36:37], 1.0
	v_fma_f64 v[36:37], v[36:37], v[38:39], v[36:37]
	v_div_scale_f64 v[38:39], vcc, v[48:49], v[56:57], v[48:49]
	v_mul_f64 v[40:41], v[38:39], v[36:37]
	v_fma_f64 v[30:31], -v[30:31], v[40:41], v[38:39]
	s_nop 1
	v_div_fmas_f64 v[30:31], v[30:31], v[36:37], v[40:41]
	v_div_scale_f64 v[36:37], s[28:29], v[54:55], v[54:55], s[24:25]
	v_div_fixup_f64 v[30:31], v[30:31], v[56:57], v[48:49]
	v_rcp_f64_e32 v[38:39], v[36:37]
	v_add_f64 v[30:31], v[30:31], 1.0
	v_fma_f64 v[40:41], -v[36:37], v[38:39], 1.0
	v_fma_f64 v[38:39], v[38:39], v[40:41], v[38:39]
	v_fma_f64 v[40:41], -v[36:37], v[38:39], 1.0
	v_fma_f64 v[38:39], v[38:39], v[40:41], v[38:39]
	v_div_scale_f64 v[40:41], vcc, s[24:25], v[54:55], s[24:25]
	v_mul_f64 v[60:61], v[40:41], v[38:39]
	v_fma_f64 v[36:37], -v[36:37], v[60:61], v[40:41]
	s_nop 1
	v_div_fmas_f64 v[36:37], v[36:37], v[38:39], v[60:61]
	v_div_fixup_f64 v[36:37], v[36:37], v[54:55], s[24:25]
	v_add_f64 v[36:37], v[46:47], v[36:37]
	v_div_scale_f64 v[38:39], s[28:29], v[32:33], v[32:33], v[36:37]
	v_rcp_f64_e32 v[40:41], v[38:39]
	v_fma_f64 v[60:61], -v[38:39], v[40:41], 1.0
	v_fma_f64 v[40:41], v[40:41], v[60:61], v[40:41]
	v_fma_f64 v[60:61], -v[38:39], v[40:41], 1.0
	v_fma_f64 v[40:41], v[40:41], v[60:61], v[40:41]
	v_div_scale_f64 v[60:61], vcc, v[36:37], v[32:33], v[36:37]
	v_mul_f64 v[62:63], v[60:61], v[40:41]
	v_fma_f64 v[38:39], -v[38:39], v[62:63], v[60:61]
	s_nop 1
	v_div_fmas_f64 v[38:39], v[38:39], v[40:41], v[62:63]
	v_div_fixup_f64 v[38:39], v[38:39], v[32:33], v[36:37]
	v_add_f64 v[30:31], v[38:39], v[30:31]
	v_div_scale_f64 v[38:39], s[28:29], v[30:31], v[30:31], v[42:43]
	v_rcp_f64_e32 v[40:41], v[38:39]
	v_fma_f64 v[60:61], -v[38:39], v[40:41], 1.0
	v_fma_f64 v[40:41], v[40:41], v[60:61], v[40:41]
	v_fma_f64 v[60:61], -v[38:39], v[40:41], 1.0
	v_fma_f64 v[40:41], v[40:41], v[60:61], v[40:41]
	v_div_scale_f64 v[60:61], vcc, v[42:43], v[30:31], v[42:43]
	v_mul_f64 v[62:63], v[60:61], v[40:41]
	v_fma_f64 v[38:39], -v[38:39], v[62:63], v[60:61]
	s_nop 1
	v_div_fmas_f64 v[38:39], v[38:39], v[40:41], v[62:63]
	v_div_fixup_f64 v[40:41], v[38:39], v[30:31], v[42:43]
	v_mul_f64 v[30:31], v[36:37], v[40:41]
	v_div_scale_f64 v[36:37], s[28:29], v[32:33], v[32:33], v[30:31]
	v_rcp_f64_e32 v[38:39], v[36:37]
	v_fma_f64 v[60:61], -v[36:37], v[38:39], 1.0
	v_fma_f64 v[38:39], v[38:39], v[60:61], v[38:39]
	v_fma_f64 v[60:61], -v[36:37], v[38:39], 1.0
	v_fma_f64 v[38:39], v[38:39], v[60:61], v[38:39]
	v_div_scale_f64 v[60:61], vcc, v[30:31], v[32:33], v[30:31]
	v_mul_f64 v[62:63], v[60:61], v[38:39]
	v_fma_f64 v[36:37], -v[36:37], v[62:63], v[60:61]
	s_nop 1
	v_div_fmas_f64 v[36:37], v[36:37], v[38:39], v[62:63]
	v_add_f64 v[38:39], v[28:29], v[40:41]
	v_subrev_co_u32_e32 v59, vcc, 1, v59
	v_div_fixup_f64 v[36:37], v[36:37], v[32:33], v[30:31]
	v_fma_f64 v[30:31], v[36:37], 2.0, v[38:39]
	v_add_f64 v[54:55], v[54:55], -v[30:31]
	v_cmp_lt_f64_e64 s[28:29], |v[54:55]|, s[26:27]
	s_or_b64 s[28:29], s[28:29], vcc
	s_and_b64 s[28:29], exec, s[28:29]
	s_or_b64 s[18:19], s[28:29], s[18:19]
	s_andn2_b64 exec, exec, s[18:19]
	s_cbranch_execnz .LBB0_3
; %bb.4:
	s_or_b64 exec, exec, s[18:19]
	v_mul_f64 v[42:43], v[48:49], v[40:41]
	v_div_scale_f64 v[54:55], s[12:13], v[56:57], v[56:57], v[42:43]
	v_div_scale_f64 v[0:1], vcc, v[42:43], v[56:57], v[42:43]
	v_rcp_f64_e32 v[59:60], v[54:55]
	v_fma_f64 v[61:62], -v[54:55], v[59:60], 1.0
	v_fma_f64 v[59:60], v[59:60], v[61:62], v[59:60]
	v_fma_f64 v[61:62], -v[54:55], v[59:60], 1.0
	v_fma_f64 v[59:60], v[59:60], v[61:62], v[59:60]
	v_mul_f64 v[61:62], v[0:1], v[59:60]
	v_fma_f64 v[0:1], -v[54:55], v[61:62], v[0:1]
	v_div_fmas_f64 v[0:1], v[0:1], v[59:60], v[61:62]
	v_div_fixup_f64 v[42:43], v[0:1], v[56:57], v[42:43]
	s_branch .LBB0_7
.LBB0_5:
                                        ; implicit-def: $vgpr34_vgpr35
                                        ; implicit-def: $vgpr28_vgpr29
                                        ; implicit-def: $vgpr42_vgpr43
                                        ; implicit-def: $vgpr40_vgpr41
                                        ; implicit-def: $vgpr36_vgpr37
                                        ; implicit-def: $vgpr30_vgpr31
                                        ; implicit-def: $vgpr38_vgpr39
	s_cbranch_execz .LBB0_7
; %bb.6:
	v_div_scale_f64 v[28:29], s[12:13], v[52:53], v[52:53], v[50:51]
	v_rcp_f64_e32 v[30:31], v[28:29]
	v_fma_f64 v[34:35], -v[28:29], v[30:31], 1.0
	v_fma_f64 v[30:31], v[30:31], v[34:35], v[30:31]
	v_fma_f64 v[34:35], -v[28:29], v[30:31], 1.0
	v_fma_f64 v[30:31], v[30:31], v[34:35], v[30:31]
	v_div_scale_f64 v[34:35], vcc, v[50:51], v[52:53], v[50:51]
	v_mul_f64 v[36:37], v[34:35], v[30:31]
	v_fma_f64 v[28:29], -v[28:29], v[36:37], v[34:35]
	s_nop 1
	v_div_fmas_f64 v[28:29], v[28:29], v[30:31], v[36:37]
	v_div_scale_f64 v[36:37], s[12:13], v[44:45], v[44:45], v[48:49]
	v_mov_b32_e32 v30, 0xd79435e
	v_mov_b32_e32 v31, 0x3fb435e5
	v_mul_f64 v[30:31], s[16:17], v[30:31]
	v_div_fixup_f64 v[34:35], v[28:29], v[52:53], v[50:51]
	v_rcp_f64_e32 v[38:39], v[36:37]
	v_add_f64 v[28:29], s[16:17], -v[34:35]
	v_fma_f64 v[40:41], -v[36:37], v[38:39], 1.0
	v_fma_f64 v[38:39], v[38:39], v[40:41], v[38:39]
	v_fma_f64 v[40:41], -v[36:37], v[38:39], 1.0
	v_fma_f64 v[38:39], v[38:39], v[40:41], v[38:39]
	v_div_scale_f64 v[40:41], vcc, v[48:49], v[44:45], v[48:49]
	v_mul_f64 v[42:43], v[40:41], v[38:39]
	v_fma_f64 v[36:37], -v[36:37], v[42:43], v[40:41]
	s_nop 1
	v_div_fmas_f64 v[36:37], v[36:37], v[38:39], v[42:43]
	v_div_scale_f64 v[38:39], s[12:13], v[32:33], v[32:33], v[46:47]
	v_div_fixup_f64 v[36:37], v[36:37], v[44:45], v[48:49]
	v_rcp_f64_e32 v[40:41], v[38:39]
	v_add_f64 v[36:37], v[36:37], 1.0
	v_fma_f64 v[42:43], -v[38:39], v[40:41], 1.0
	v_fma_f64 v[40:41], v[40:41], v[42:43], v[40:41]
	v_fma_f64 v[42:43], -v[38:39], v[40:41], 1.0
	v_fma_f64 v[40:41], v[40:41], v[42:43], v[40:41]
	v_div_scale_f64 v[42:43], vcc, v[46:47], v[32:33], v[46:47]
	v_mul_f64 v[50:51], v[42:43], v[40:41]
	v_fma_f64 v[38:39], -v[38:39], v[50:51], v[42:43]
	s_nop 1
	v_div_fmas_f64 v[38:39], v[38:39], v[40:41], v[50:51]
	v_div_fixup_f64 v[38:39], v[38:39], v[32:33], v[46:47]
	v_add_f64 v[36:37], v[38:39], v[36:37]
	v_div_scale_f64 v[38:39], s[12:13], v[36:37], v[36:37], v[30:31]
	v_rcp_f64_e32 v[40:41], v[38:39]
	v_fma_f64 v[42:43], -v[38:39], v[40:41], 1.0
	v_fma_f64 v[40:41], v[40:41], v[42:43], v[40:41]
	v_fma_f64 v[42:43], -v[38:39], v[40:41], 1.0
	v_fma_f64 v[40:41], v[40:41], v[42:43], v[40:41]
	v_div_scale_f64 v[42:43], vcc, v[30:31], v[36:37], v[30:31]
	v_mul_f64 v[50:51], v[42:43], v[40:41]
	v_fma_f64 v[38:39], -v[38:39], v[50:51], v[42:43]
	s_nop 1
	v_div_fmas_f64 v[38:39], v[38:39], v[40:41], v[50:51]
	v_div_fixup_f64 v[40:41], v[38:39], v[36:37], v[30:31]
	v_mul_f64 v[30:31], v[48:49], v[40:41]
	v_div_scale_f64 v[36:37], s[12:13], v[44:45], v[44:45], v[30:31]
	v_rcp_f64_e32 v[38:39], v[36:37]
	v_fma_f64 v[42:43], -v[36:37], v[38:39], 1.0
	v_fma_f64 v[38:39], v[38:39], v[42:43], v[38:39]
	v_fma_f64 v[42:43], -v[36:37], v[38:39], 1.0
	v_fma_f64 v[38:39], v[38:39], v[42:43], v[38:39]
	v_div_scale_f64 v[42:43], vcc, v[30:31], v[44:45], v[30:31]
	v_mul_f64 v[48:49], v[42:43], v[38:39]
	v_fma_f64 v[36:37], -v[36:37], v[48:49], v[42:43]
	s_nop 1
	v_div_fmas_f64 v[36:37], v[36:37], v[38:39], v[48:49]
	v_div_fixup_f64 v[42:43], v[36:37], v[44:45], v[30:31]
	v_mul_f64 v[30:31], v[46:47], v[40:41]
	v_div_scale_f64 v[36:37], s[12:13], v[32:33], v[32:33], v[30:31]
	v_rcp_f64_e32 v[38:39], v[36:37]
	v_fma_f64 v[44:45], -v[36:37], v[38:39], 1.0
	v_fma_f64 v[38:39], v[38:39], v[44:45], v[38:39]
	v_fma_f64 v[44:45], -v[36:37], v[38:39], 1.0
	v_fma_f64 v[38:39], v[38:39], v[44:45], v[38:39]
	v_div_scale_f64 v[44:45], vcc, v[30:31], v[32:33], v[30:31]
	v_mul_f64 v[46:47], v[44:45], v[38:39]
	v_fma_f64 v[36:37], -v[36:37], v[46:47], v[44:45]
	s_nop 1
	v_div_fmas_f64 v[36:37], v[36:37], v[38:39], v[46:47]
	v_add_f64 v[38:39], v[28:29], v[40:41]
	v_div_fixup_f64 v[36:37], v[36:37], v[32:33], v[30:31]
	v_fma_f64 v[30:31], v[36:37], 2.0, v[38:39]
.LBB0_7:
	s_mov_b32 s12, 0
	s_mov_b32 s13, 0xc0fce4c0
	v_div_scale_f64 v[0:1], s[16:17], v[6:7], v[6:7], s[12:13]
	s_mov_b32 s22, 0x652b82fe
	s_mov_b32 s23, 0x3ff71547
	;; [unrolled: 1-line block ×14, first 2 shown]
	v_rcp_f64_e32 v[32:33], v[0:1]
	s_mov_b32 s38, 0x1852b7b0
	s_mov_b32 s39, 0x3f56c16c
	;; [unrolled: 1-line block ×10, first 2 shown]
	v_mov_b32_e32 v54, 0x3ff00000
	s_movk_i32 s33, 0x204
	s_mov_b32 s48, 0
	s_mov_b32 s49, 0x7ff00000
	;; [unrolled: 1-line block ×3, first 2 shown]
	v_fma_f64 v[44:45], -v[0:1], v[32:33], 1.0
	s_mov_b32 s18, 0
	s_mov_b32 s17, 0x40900000
	;; [unrolled: 1-line block ×3, first 2 shown]
	s_brev_b32 s50, -2
	v_mov_b32_e32 v57, 0x7ff80000
	v_fma_f64 v[32:33], v[32:33], v[44:45], v[32:33]
	v_fma_f64 v[44:45], -v[0:1], v[32:33], 1.0
	v_fma_f64 v[32:33], v[32:33], v[44:45], v[32:33]
	v_div_scale_f64 v[44:45], vcc, s[12:13], v[6:7], s[12:13]
	v_mul_f64 v[46:47], v[44:45], v[32:33]
	v_fma_f64 v[0:1], -v[0:1], v[46:47], v[44:45]
	s_nop 1
	v_div_fmas_f64 v[0:1], v[0:1], v[32:33], v[46:47]
	v_div_fixup_f64 v[32:33], v[0:1], v[6:7], s[12:13]
	s_mov_b32 s12, 0xfca7ab0c
	s_mov_b32 s13, 0x3e928af3
	v_mul_f64 v[0:1], v[32:33], s[22:23]
	v_rndne_f64_e32 v[0:1], v[0:1]
	v_fma_f64 v[44:45], v[0:1], s[24:25], v[32:33]
	v_fma_f64 v[46:47], v[0:1], s[26:27], v[44:45]
	v_mov_b32_e32 v45, s13
	v_mov_b32_e32 v44, s12
	v_cvt_i32_f64_e32 v0, v[0:1]
	v_fma_f64 v[48:49], v[46:47], s[28:29], v[44:45]
	v_fma_f64 v[48:49], v[46:47], v[48:49], s[30:31]
	;; [unrolled: 1-line block ×9, first 2 shown]
	v_fma_f64 v[48:49], v[46:47], v[48:49], 1.0
	v_fma_f64 v[46:47], v[46:47], v[48:49], 1.0
	v_ldexp_f64 v[46:47], v[46:47], v0
	v_mov_b32_e32 v0, 0xbfd96872
	v_cndmask_b32_e64 v49, v0, v54, s[8:9]
	v_mov_b32_e32 v0, 0xb020c49c
	v_cndmask_b32_e64 v48, v0, 0, s[8:9]
	v_mul_f64 v[0:1], v[48:49], v[18:19]
	v_fma_f64 v[50:51], v[48:49], v[18:19], -v[0:1]
	v_cmp_class_f64_e64 vcc, v[0:1], s33
	v_fma_f64 v[50:51], v[48:49], v[20:21], v[50:51]
	v_add_f64 v[52:53], v[0:1], v[50:51]
	v_add_f64 v[55:56], v[52:53], -v[0:1]
	v_cndmask_b32_e32 v1, v53, v1, vcc
	v_cndmask_b32_e32 v0, v52, v0, vcc
	v_mul_f64 v[52:53], v[0:1], s[22:23]
	v_cmp_neq_f64_e64 vcc, |v[0:1]|, s[48:49]
	v_cmp_ngt_f64_e64 s[12:13], s[18:19], v[0:1]
	v_add_f64 v[50:51], v[50:51], -v[55:56]
	v_rndne_f64_e32 v[52:53], v[52:53]
	v_cndmask_b32_e32 v51, 0, v51, vcc
	v_cndmask_b32_e32 v50, 0, v50, vcc
	v_cmp_nlt_f64_e32 vcc, s[16:17], v[0:1]
	v_fma_f64 v[55:56], v[52:53], s[24:25], v[0:1]
	v_fma_f64 v[55:56], v[52:53], s[26:27], v[55:56]
	v_cvt_i32_f64_e32 v52, v[52:53]
	v_fma_f64 v[59:60], v[55:56], s[28:29], v[44:45]
	v_fma_f64 v[59:60], v[55:56], v[59:60], s[30:31]
	;; [unrolled: 1-line block ×9, first 2 shown]
	v_fma_f64 v[59:60], v[55:56], v[59:60], 1.0
	v_fma_f64 v[55:56], v[55:56], v[59:60], 1.0
	v_ldexp_f64 v[52:53], v[55:56], v52
	v_mov_b32_e32 v56, 0x7ff00000
	v_cndmask_b32_e32 v53, v56, v53, vcc
	s_and_b64 vcc, s[12:13], vcc
	v_cndmask_b32_e32 v0, 0, v52, vcc
	v_cndmask_b32_e64 v1, 0, v53, s[12:13]
	v_fma_f64 v[50:51], v[0:1], v[50:51], v[0:1]
	v_cmp_class_f64_e64 vcc, v[0:1], s33
	v_cndmask_b32_e32 v50, v50, v0, vcc
	v_cndmask_b32_e32 v51, v51, v1, vcc
	v_trunc_f64_e32 v[0:1], v[48:49]
	v_cmp_eq_f64_e32 vcc, v[0:1], v[48:49]
	v_mul_f64 v[0:1], v[48:49], 0.5
	v_trunc_f64_e32 v[52:53], v[0:1]
	v_cmp_neq_f64_e64 s[12:13], v[52:53], v[0:1]
	v_cndmask_b32_e32 v1, 0, v50, vcc
	v_cndmask_b32_e64 v1, v50, v1, s[4:5]
	s_and_b64 s[12:13], vcc, s[12:13]
	v_cndmask_b32_e64 v0, v54, v7, s[12:13]
	v_bfi_b32 v0, s50, v51, v0
	v_cndmask_b32_e32 v51, v57, v0, vcc
	v_cmp_gt_f64_e32 vcc, 0, v[48:49]
	v_cndmask_b32_e64 v49, 0, v7, s[12:13]
	s_mov_b32 s12, 0
	v_cndmask_b32_e64 v0, v0, v51, s[4:5]
	s_mov_b32 s13, 0xc11ce898
	s_xor_b64 s[52:53], s[2:3], vcc
	v_cndmask_b32_e64 v48, v56, 0, s[52:53]
	v_bfi_b32 v49, s50, v48, v49
	v_cndmask_b32_e64 v48, v1, 0, s[10:11]
	v_cndmask_b32_e64 v49, v0, v49, s[10:11]
	v_div_scale_f64 v[0:1], s[52:53], v[6:7], v[6:7], s[12:13]
	v_rcp_f64_e32 v[50:51], v[0:1]
	v_fma_f64 v[52:53], -v[0:1], v[50:51], 1.0
	v_fma_f64 v[50:51], v[50:51], v[52:53], v[50:51]
	v_fma_f64 v[52:53], -v[0:1], v[50:51], 1.0
	v_fma_f64 v[50:51], v[50:51], v[52:53], v[50:51]
	v_div_scale_f64 v[52:53], vcc, s[12:13], v[6:7], s[12:13]
	v_mul_f64 v[59:60], v[52:53], v[50:51]
	v_fma_f64 v[0:1], -v[0:1], v[59:60], v[52:53]
	s_nop 1
	v_div_fmas_f64 v[0:1], v[0:1], v[50:51], v[59:60]
	v_div_fixup_f64 v[0:1], v[0:1], v[6:7], s[12:13]
	v_mul_f64 v[50:51], v[0:1], s[22:23]
	v_cmp_nlt_f64_e32 vcc, s[16:17], v[0:1]
	v_cmp_ngt_f64_e64 s[12:13], s[18:19], v[0:1]
	v_rndne_f64_e32 v[50:51], v[50:51]
	v_fma_f64 v[52:53], v[50:51], s[24:25], v[0:1]
	v_mov_b32_e32 v0, 0x3fd7573e
	v_fma_f64 v[52:53], v[50:51], s[26:27], v[52:53]
	v_cvt_i32_f64_e32 v50, v[50:51]
	v_fma_f64 v[59:60], v[52:53], s[28:29], v[44:45]
	v_fma_f64 v[59:60], v[52:53], v[59:60], s[30:31]
	;; [unrolled: 1-line block ×9, first 2 shown]
	v_fma_f64 v[59:60], v[52:53], v[59:60], 1.0
	v_fma_f64 v[52:53], v[52:53], v[59:60], 1.0
	v_ldexp_f64 v[50:51], v[52:53], v50
	v_cndmask_b32_e64 v53, v0, v54, s[8:9]
	v_mov_b32_e32 v0, 0xab367a10
	v_cndmask_b32_e64 v52, v0, 0, s[8:9]
	v_mul_f64 v[0:1], v[52:53], v[18:19]
	v_cndmask_b32_e32 v51, v56, v51, vcc
	s_and_b64 vcc, s[12:13], vcc
	v_cndmask_b32_e32 v50, 0, v50, vcc
	v_cndmask_b32_e64 v51, 0, v51, s[12:13]
	v_fma_f64 v[18:19], v[52:53], v[18:19], -v[0:1]
	v_cmp_class_f64_e64 vcc, v[0:1], s33
	v_fma_f64 v[18:19], v[52:53], v[20:21], v[18:19]
	v_add_f64 v[20:21], v[0:1], v[18:19]
	v_add_f64 v[59:60], v[20:21], -v[0:1]
	v_cndmask_b32_e32 v1, v21, v1, vcc
	v_cndmask_b32_e32 v0, v20, v0, vcc
	v_mul_f64 v[20:21], v[0:1], s[22:23]
	v_cmp_neq_f64_e64 vcc, |v[0:1]|, s[48:49]
	v_cmp_ngt_f64_e64 s[8:9], s[18:19], v[0:1]
	v_add_f64 v[18:19], v[18:19], -v[59:60]
	v_rndne_f64_e32 v[20:21], v[20:21]
	v_cndmask_b32_e32 v19, 0, v19, vcc
	v_cndmask_b32_e32 v18, 0, v18, vcc
	v_cmp_nlt_f64_e32 vcc, s[16:17], v[0:1]
	v_fma_f64 v[59:60], v[20:21], s[24:25], v[0:1]
	v_fma_f64 v[59:60], v[20:21], s[26:27], v[59:60]
	v_cvt_i32_f64_e32 v20, v[20:21]
	v_fma_f64 v[61:62], v[59:60], s[28:29], v[44:45]
	v_fma_f64 v[61:62], v[59:60], v[61:62], s[30:31]
	v_fma_f64 v[61:62], v[59:60], v[61:62], s[34:35]
	v_fma_f64 v[61:62], v[59:60], v[61:62], s[36:37]
	v_fma_f64 v[61:62], v[59:60], v[61:62], s[38:39]
	v_fma_f64 v[61:62], v[59:60], v[61:62], s[40:41]
	v_fma_f64 v[61:62], v[59:60], v[61:62], s[42:43]
	v_fma_f64 v[61:62], v[59:60], v[61:62], s[44:45]
	v_fma_f64 v[61:62], v[59:60], v[61:62], s[46:47]
	v_fma_f64 v[61:62], v[59:60], v[61:62], 1.0
	v_fma_f64 v[59:60], v[59:60], v[61:62], 1.0
	v_ldexp_f64 v[20:21], v[59:60], v20
	v_cndmask_b32_e32 v21, v56, v21, vcc
	s_and_b64 vcc, s[8:9], vcc
	v_cndmask_b32_e32 v0, 0, v20, vcc
	v_cndmask_b32_e64 v1, 0, v21, s[8:9]
	v_fma_f64 v[18:19], v[0:1], v[18:19], v[0:1]
	v_cmp_class_f64_e64 vcc, v[0:1], s33
	v_cndmask_b32_e32 v18, v18, v0, vcc
	v_cndmask_b32_e32 v19, v19, v1, vcc
	v_trunc_f64_e32 v[0:1], v[52:53]
	v_cmp_eq_f64_e32 vcc, v[0:1], v[52:53]
	v_mul_f64 v[0:1], v[52:53], 0.5
	v_trunc_f64_e32 v[20:21], v[0:1]
	v_cmp_neq_f64_e64 s[8:9], v[20:21], v[0:1]
	v_frexp_mant_f64_e32 v[20:21], v[6:7]
	v_cndmask_b32_e32 v1, 0, v18, vcc
	v_cndmask_b32_e64 v1, v18, v1, s[4:5]
	v_cndmask_b32_e64 v18, v56, 0, s[2:3]
	s_and_b64 s[8:9], vcc, s[8:9]
	v_cndmask_b32_e64 v0, v54, v7, s[8:9]
	v_bfi_b32 v0, s50, v19, v0
	v_cndmask_b32_e32 v19, v57, v0, vcc
	v_cndmask_b32_e64 v0, v0, v19, s[4:5]
	v_cndmask_b32_e64 v19, 0, v7, s[8:9]
	s_mov_b32 s9, 0x3fe55555
	s_mov_b32 s8, 0x55555555
	v_cmp_gt_f64_e32 vcc, s[8:9], v[20:21]
	v_bfi_b32 v19, s50, v18, v19
	v_cndmask_b32_e64 v19, v0, v19, s[10:11]
	v_cndmask_b32_e64 v18, v1, 0, s[10:11]
	s_mov_b32 s10, 0xbf559e2b
	s_mov_b32 s11, 0x3fc3ab76
	;; [unrolled: 1-line block ×3, first 2 shown]
	v_cndmask_b32_e64 v0, 0, 1, vcc
	v_ldexp_f64 v[0:1], v[20:21], v0
	v_subbrev_co_u32_e32 v10, vcc, 0, v58, vcc
	v_add_f64 v[52:53], v[0:1], 1.0
	v_add_f64 v[20:21], v[0:1], -1.0
	v_add_f64 v[54:55], v[52:53], -1.0
	v_add_f64 v[0:1], v[0:1], -v[54:55]
	v_rcp_f64_e32 v[54:55], v[52:53]
	v_fma_f64 v[58:59], -v[52:53], v[54:55], 1.0
	v_fma_f64 v[54:55], v[58:59], v[54:55], v[54:55]
	v_fma_f64 v[58:59], -v[52:53], v[54:55], 1.0
	v_fma_f64 v[54:55], v[58:59], v[54:55], v[54:55]
	v_mul_f64 v[58:59], v[20:21], v[54:55]
	v_mul_f64 v[60:61], v[52:53], v[58:59]
	v_fma_f64 v[52:53], v[58:59], v[52:53], -v[60:61]
	v_fma_f64 v[0:1], v[58:59], v[0:1], v[52:53]
	v_add_f64 v[52:53], v[60:61], v[0:1]
	v_add_f64 v[62:63], v[20:21], -v[52:53]
	v_add_f64 v[60:61], v[52:53], -v[60:61]
	;; [unrolled: 1-line block ×5, first 2 shown]
	v_add_f64 v[0:1], v[0:1], v[20:21]
	v_add_f64 v[0:1], v[62:63], v[0:1]
	v_mul_f64 v[0:1], v[54:55], v[0:1]
	v_mov_b32_e32 v54, 0x6b47b09a
	v_mov_b32_e32 v55, 0x3fc38538
	v_add_f64 v[20:21], v[58:59], v[0:1]
	v_add_f64 v[52:53], v[20:21], -v[58:59]
	v_ldexp_f64 v[58:59], v[20:21], 1
	v_add_f64 v[0:1], v[0:1], -v[52:53]
	v_mul_f64 v[52:53], v[20:21], v[20:21]
	v_ldexp_f64 v[0:1], v[0:1], 1
	v_fma_f64 v[54:55], v[52:53], s[10:11], v[54:55]
	s_mov_b32 s10, 0xd7f4df2e
	s_mov_b32 s11, 0x3fc7474d
	v_mul_f64 v[20:21], v[20:21], v[52:53]
	v_fma_f64 v[54:55], v[52:53], v[54:55], s[10:11]
	s_mov_b32 s10, 0x16291751
	s_mov_b32 s11, 0x3fcc71c0
	v_fma_f64 v[54:55], v[52:53], v[54:55], s[10:11]
	s_mov_b32 s10, 0x9b27acf1
	s_mov_b32 s11, 0x3fd24924
	;; [unrolled: 3-line block ×3, first 2 shown]
	v_fma_f64 v[54:55], v[52:53], v[54:55], s[10:11]
	v_fma_f64 v[54:55], v[52:53], v[54:55], s[8:9]
	s_mov_b32 s9, 0x3fe62e42
	s_mov_b32 s8, s24
	v_mul_f64 v[20:21], v[20:21], v[54:55]
	v_add_f64 v[54:55], v[58:59], v[20:21]
	v_add_f64 v[52:53], v[54:55], -v[58:59]
	v_add_f64 v[20:21], v[20:21], -v[52:53]
	v_add_f64 v[0:1], v[0:1], v[20:21]
	v_add_f64 v[52:53], v[54:55], v[0:1]
	v_add_f64 v[20:21], v[52:53], -v[54:55]
	v_cvt_f64_i32_e32 v[54:55], v10
	v_add_f64 v[20:21], v[0:1], -v[20:21]
	v_mul_f64 v[0:1], v[54:55], s[8:9]
	v_fma_f64 v[58:59], v[54:55], s[8:9], -v[0:1]
	s_mov_b32 s9, 0x3c7abc9e
	s_mov_b32 s8, s26
	v_fma_f64 v[54:55], v[54:55], s[8:9], v[58:59]
	v_add_f64 v[58:59], v[0:1], v[54:55]
	v_add_f64 v[0:1], v[58:59], -v[0:1]
	v_add_f64 v[0:1], v[54:55], -v[0:1]
	v_add_f64 v[54:55], v[58:59], v[52:53]
	v_add_f64 v[60:61], v[54:55], -v[58:59]
	v_add_f64 v[62:63], v[54:55], -v[60:61]
	;; [unrolled: 1-line block ×4, first 2 shown]
	v_add_f64 v[52:53], v[52:53], v[58:59]
	v_add_f64 v[58:59], v[0:1], v[20:21]
	v_add_f64 v[60:61], v[58:59], -v[0:1]
	v_add_f64 v[62:63], v[58:59], -v[60:61]
	;; [unrolled: 1-line block ×4, first 2 shown]
	v_add_f64 v[0:1], v[20:21], v[0:1]
	v_add_f64 v[20:21], v[58:59], v[52:53]
	;; [unrolled: 1-line block ×3, first 2 shown]
	v_add_f64 v[54:55], v[52:53], -v[54:55]
	v_add_f64 v[20:21], v[20:21], -v[54:55]
	v_add_f64 v[0:1], v[0:1], v[20:21]
	v_add_f64 v[0:1], v[52:53], v[0:1]
	v_cndmask_b32_e64 v1, v1, v7, s[6:7]
	v_cndmask_b32_e64 v0, v0, v6, s[6:7]
	s_mov_b32 s6, 0
	s_mov_b32 s7, 0x40160000
	v_add_f64 v[0:1], -v[0:1], s[6:7]
	v_cndmask_b32_e64 v1, v1, v57, s[4:5]
	s_or_b64 s[4:5], s[2:3], s[4:5]
	v_cndmask_b32_e64 v0, v0, 0, s[4:5]
	v_cndmask_b32_e64 v1, v1, v56, s[2:3]
	v_mul_f64 v[0:1], v[0:1], v[0:1]
	s_mov_b32 s2, 0
	s_mov_b32 s3, 0xc0080000
	v_div_scale_f64 v[6:7], s[4:5], s[2:3], s[2:3], v[0:1]
	s_mov_b32 s4, 0x653aaa2f
	s_mov_b32 s5, 0x3a933025
	v_rcp_f64_e32 v[20:21], v[6:7]
	v_fma_f64 v[52:53], -v[6:7], v[20:21], 1.0
	v_fma_f64 v[20:21], v[20:21], v[52:53], v[20:21]
	v_fma_f64 v[52:53], -v[6:7], v[20:21], 1.0
	v_fma_f64 v[20:21], v[20:21], v[52:53], v[20:21]
	v_div_scale_f64 v[52:53], vcc, v[0:1], s[2:3], v[0:1]
	v_mul_f64 v[54:55], v[52:53], v[20:21]
	v_fma_f64 v[6:7], -v[6:7], v[54:55], v[52:53]
	s_nop 1
	v_div_fmas_f64 v[6:7], v[6:7], v[20:21], v[54:55]
	v_cmp_nlt_f64_e32 vcc, s[16:17], v[32:33]
	v_div_fixup_f64 v[20:21], v[6:7], s[2:3], v[0:1]
	s_mov_b32 s2, 0x36d36238
	s_mov_b32 s3, 0x3b07fb31
	v_mul_f64 v[0:1], v[20:21], s[22:23]
	v_rndne_f64_e32 v[0:1], v[0:1]
	v_fma_f64 v[6:7], v[0:1], s[24:25], v[20:21]
	v_fma_f64 v[6:7], v[0:1], s[26:27], v[6:7]
	v_cvt_i32_f64_e32 v0, v[0:1]
	v_fma_f64 v[44:45], v[6:7], s[28:29], v[44:45]
	v_fma_f64 v[44:45], v[6:7], v[44:45], s[30:31]
	;; [unrolled: 1-line block ×9, first 2 shown]
	v_fma_f64 v[44:45], v[6:7], v[44:45], 1.0
	v_fma_f64 v[6:7], v[6:7], v[44:45], 1.0
	v_ldexp_f64 v[44:45], v[6:7], v0
	v_mul_f64 v[0:1], v[34:35], s[2:3]
	s_mov_b32 s2, 0x3029af8
	s_mov_b32 s3, 0x3b20972b
	v_fma_f64 v[0:1], v[42:43], s[2:3], v[0:1]
	s_mov_b32 s2, 0xafda58c5
	s_mov_b32 s3, 0x3ae80eae
	v_fma_f64 v[0:1], v[40:41], s[2:3], v[0:1]
	s_mov_b32 s2, 0xbabb6581
	s_mov_b32 s3, 0x3c2bab8c
	v_cndmask_b32_e64 v7, v1, 0, s[20:21]
	v_cndmask_b32_e64 v6, v0, 0, s[20:21]
	v_mul_f64 v[0:1], v[46:47], s[2:3]
	v_cmp_ngt_f64_e64 s[2:3], s[18:19], v[32:33]
	v_cndmask_b32_e32 v1, v56, v1, vcc
	s_and_b64 vcc, s[2:3], vcc
	v_cndmask_b32_e64 v1, 0, v1, s[2:3]
	s_mov_b32 s2, 0xd340d1f4
	s_mov_b32 s3, 0x3c8fef98
	v_mul_f64 v[32:33], v[48:49], s[2:3]
	v_cndmask_b32_e32 v0, 0, v0, vcc
	v_mul_f64 v[0:1], v[24:25], v[0:1]
	s_mov_b32 s2, 0xd9928ced
	s_mov_b32 s3, 0x3b97fd57
	v_cmp_nlt_f64_e32 vcc, s[16:17], v[20:21]
	v_cndmask_b32_e64 v33, v33, v57, s[0:1]
	v_cndmask_b32_e64 v32, v32, 0, s[0:1]
	v_mul_f64 v[32:33], v[50:51], v[32:33]
	v_mul_f64 v[0:1], v[0:1], v[30:31]
	;; [unrolled: 1-line block ×5, first 2 shown]
	v_fma_f64 v[32:33], v[32:33], v[40:41], v[0:1]
	v_mul_f64 v[0:1], v[2:3], s[2:3]
	s_mov_b32 s2, 0xc1c0e6ac
	s_mov_b32 s3, 0x3b91b7e3
	v_mul_f64 v[0:1], v[0:1], v[22:23]
	v_mul_f64 v[22:23], v[2:3], s[2:3]
	s_mov_b32 s2, 0xa38e75eb
	s_mov_b32 s3, 0x3b82b358
	v_mul_f64 v[0:1], v[24:25], v[0:1]
	v_mul_f64 v[22:23], v[22:23], v[26:27]
	;; [unrolled: 1-line block ×4, first 2 shown]
	v_fma_f64 v[0:1], v[0:1], v[34:35], v[32:33]
	v_mul_f64 v[22:23], v[22:23], v[30:31]
	v_fma_f64 v[0:1], v[22:23], v[42:43], v[0:1]
	v_mul_f64 v[22:23], v[2:3], s[2:3]
	s_mov_b32 s3, 0x3a858a47
	s_mov_b32 s2, 0xb55aa151
	v_mul_f64 v[16:17], v[22:23], v[16:17]
	v_mul_f64 v[16:17], v[24:25], v[16:17]
	;; [unrolled: 1-line block ×3, first 2 shown]
	v_fma_f64 v[0:1], v[16:17], v[40:41], v[0:1]
	v_mul_f64 v[16:17], v[2:3], s[2:3]
	s_mov_b32 s3, 0x3aa58a47
	v_mul_f64 v[16:17], v[16:17], v[4:5]
	v_mul_f64 v[16:17], v[16:17], v[8:9]
	;; [unrolled: 1-line block ×3, first 2 shown]
	v_fma_f64 v[0:1], v[16:17], v[28:29], v[0:1]
	v_mul_f64 v[16:17], v[18:19], s[4:5]
	v_cndmask_b32_e64 v17, v17, v57, s[0:1]
	v_cndmask_b32_e64 v16, v16, 0, s[0:1]
	v_mul_f64 v[16:17], v[16:17], v[30:31]
	s_mov_b32 s0, 0x21f01b65
	s_mov_b32 s1, 0x3d417392
	v_fma_f64 v[0:1], v[16:17], v[40:41], v[0:1]
	v_mul_f64 v[16:17], v[2:3], s[2:3]
	v_mul_f64 v[4:5], v[16:17], v[4:5]
	;; [unrolled: 1-line block ×3, first 2 shown]
	v_mov_b32_e32 v8, 0x3a5ef047
	v_mul_f64 v[4:5], v[4:5], v[30:31]
	v_fma_f64 v[4:5], v[4:5], v[36:37], v[0:1]
	buffer_load_dword v0, off, s[80:83], 0 offset:8 ; 4-byte Folded Reload
	buffer_load_dword v1, off, s[80:83], 0 offset:12 ; 4-byte Folded Reload
	s_waitcnt vmcnt(0)
	v_mul_f64 v[0:1], v[0:1], s[0:1]
	s_mov_b32 s0, 0x5c28f5c3
	s_mov_b32 s1, 0x3fd5c28f
	v_mul_f64 v[0:1], v[12:13], v[0:1]
	v_mul_f64 v[0:1], v[14:15], v[0:1]
	;; [unrolled: 1-line block ×3, first 2 shown]
	v_fma_f64 v[4:5], v[0:1], v[40:41], v[4:5]
	v_mov_b32_e32 v0, 0x9999999a
	v_mov_b32_e32 v1, 0x3ff19999
	v_fma_f64 v[0:1], v[44:45], s[0:1], v[0:1]
	s_mov_b32 s0, 0x6280eee3
	s_mov_b32 s1, 0x3a5c2041
	v_mul_f64 v[0:1], v[0:1], s[0:1]
	v_cndmask_b32_e32 v0, 0, v0, vcc
	v_cndmask_b32_e32 v1, v56, v1, vcc
	v_cmp_ngt_f64_e32 vcc, s[18:19], v[20:21]
	v_cndmask_b32_e32 v1, v8, v1, vcc
	v_mov_b32_e32 v8, 0xec5aa061
	v_cndmask_b32_e32 v0, v8, v0, vcc
	v_mul_f64 v[0:1], v[2:3], v[0:1]
	v_fma_f64 v[2:3], v[36:37], 4.0, v[38:39]
	v_mul_f64 v[0:1], v[0:1], v[2:3]
	v_fma_f64 v[0:1], v[30:31], v[0:1], v[4:5]
	buffer_load_dword v3, off, s[80:83], 0  ; 4-byte Folded Reload
	buffer_load_dword v4, off, s[80:83], 0 offset:4 ; 4-byte Folded Reload
	v_add_f64 v[0:1], v[0:1], -v[6:7]
	s_waitcnt vmcnt(1)
	v_add_co_u32_e32 v2, vcc, s14, v3
	v_mov_b32_e32 v3, s15
	s_waitcnt vmcnt(0)
	v_addc_co_u32_e32 v3, vcc, v3, v4, vcc
	global_store_dwordx2 v[2:3], v[0:1], off
.LBB0_8:
	s_endpgm
	.section	.rodata,"a",@progbits
	.p2align	6, 0x0
	.amdhsa_kernel _Z11cool_kernelidPKdPdi
		.amdhsa_group_segment_fixed_size 0
		.amdhsa_private_segment_fixed_size 20
		.amdhsa_kernarg_size 296
		.amdhsa_user_sgpr_count 6
		.amdhsa_user_sgpr_private_segment_buffer 1
		.amdhsa_user_sgpr_dispatch_ptr 0
		.amdhsa_user_sgpr_queue_ptr 0
		.amdhsa_user_sgpr_kernarg_segment_ptr 1
		.amdhsa_user_sgpr_dispatch_id 0
		.amdhsa_user_sgpr_flat_scratch_init 0
		.amdhsa_user_sgpr_private_segment_size 0
		.amdhsa_uses_dynamic_stack 0
		.amdhsa_system_sgpr_private_segment_wavefront_offset 1
		.amdhsa_system_sgpr_workgroup_id_x 1
		.amdhsa_system_sgpr_workgroup_id_y 0
		.amdhsa_system_sgpr_workgroup_id_z 0
		.amdhsa_system_sgpr_workgroup_info 0
		.amdhsa_system_vgpr_workitem_id 0
		.amdhsa_next_free_vgpr 64
		.amdhsa_next_free_sgpr 84
		.amdhsa_reserve_vcc 1
		.amdhsa_reserve_flat_scratch 0
		.amdhsa_float_round_mode_32 0
		.amdhsa_float_round_mode_16_64 0
		.amdhsa_float_denorm_mode_32 3
		.amdhsa_float_denorm_mode_16_64 3
		.amdhsa_dx10_clamp 1
		.amdhsa_ieee_mode 1
		.amdhsa_fp16_overflow 0
		.amdhsa_exception_fp_ieee_invalid_op 0
		.amdhsa_exception_fp_denorm_src 0
		.amdhsa_exception_fp_ieee_div_zero 0
		.amdhsa_exception_fp_ieee_overflow 0
		.amdhsa_exception_fp_ieee_underflow 0
		.amdhsa_exception_fp_ieee_inexact 0
		.amdhsa_exception_int_div_zero 0
	.end_amdhsa_kernel
	.text
.Lfunc_end0:
	.size	_Z11cool_kernelidPKdPdi, .Lfunc_end0-_Z11cool_kernelidPKdPdi
                                        ; -- End function
	.set _Z11cool_kernelidPKdPdi.num_vgpr, 64
	.set _Z11cool_kernelidPKdPdi.num_agpr, 0
	.set _Z11cool_kernelidPKdPdi.numbered_sgpr, 84
	.set _Z11cool_kernelidPKdPdi.num_named_barrier, 0
	.set _Z11cool_kernelidPKdPdi.private_seg_size, 20
	.set _Z11cool_kernelidPKdPdi.uses_vcc, 1
	.set _Z11cool_kernelidPKdPdi.uses_flat_scratch, 0
	.set _Z11cool_kernelidPKdPdi.has_dyn_sized_stack, 0
	.set _Z11cool_kernelidPKdPdi.has_recursion, 0
	.set _Z11cool_kernelidPKdPdi.has_indirect_call, 0
	.section	.AMDGPU.csdata,"",@progbits
; Kernel info:
; codeLenInByte = 12600
; TotalNumSgprs: 88
; NumVgprs: 64
; ScratchSize: 20
; MemoryBound: 0
; FloatMode: 240
; IeeeMode: 1
; LDSByteSize: 0 bytes/workgroup (compile time only)
; SGPRBlocks: 10
; VGPRBlocks: 15
; NumSGPRsForWavesPerEU: 88
; NumVGPRsForWavesPerEU: 64
; Occupancy: 4
; WaveLimiterHint : 0
; COMPUTE_PGM_RSRC2:SCRATCH_EN: 1
; COMPUTE_PGM_RSRC2:USER_SGPR: 6
; COMPUTE_PGM_RSRC2:TRAP_HANDLER: 0
; COMPUTE_PGM_RSRC2:TGID_X_EN: 1
; COMPUTE_PGM_RSRC2:TGID_Y_EN: 0
; COMPUTE_PGM_RSRC2:TGID_Z_EN: 0
; COMPUTE_PGM_RSRC2:TIDIG_COMP_CNT: 0
	.section	.AMDGPU.gpr_maximums,"",@progbits
	.set amdgpu.max_num_vgpr, 0
	.set amdgpu.max_num_agpr, 0
	.set amdgpu.max_num_sgpr, 0
	.section	.AMDGPU.csdata,"",@progbits
	.type	__hip_cuid_f9c9dc18ca9643ec,@object ; @__hip_cuid_f9c9dc18ca9643ec
	.section	.bss,"aw",@nobits
	.globl	__hip_cuid_f9c9dc18ca9643ec
__hip_cuid_f9c9dc18ca9643ec:
	.byte	0                               ; 0x0
	.size	__hip_cuid_f9c9dc18ca9643ec, 1

	.ident	"AMD clang version 22.0.0git (https://github.com/RadeonOpenCompute/llvm-project roc-7.2.4 26084 f58b06dce1f9c15707c5f808fd002e18c2accf7e)"
	.section	".note.GNU-stack","",@progbits
	.addrsig
	.addrsig_sym __hip_cuid_f9c9dc18ca9643ec
	.amdgpu_metadata
---
amdhsa.kernels:
  - .args:
      - .offset:         0
        .size:           4
        .value_kind:     by_value
      - .offset:         8
        .size:           8
        .value_kind:     by_value
      - .actual_access:  read_only
        .address_space:  global
        .offset:         16
        .size:           8
        .value_kind:     global_buffer
      - .actual_access:  write_only
        .address_space:  global
        .offset:         24
        .size:           8
        .value_kind:     global_buffer
      - .offset:         32
        .size:           4
        .value_kind:     by_value
      - .offset:         40
        .size:           4
        .value_kind:     hidden_block_count_x
      - .offset:         44
        .size:           4
        .value_kind:     hidden_block_count_y
      - .offset:         48
        .size:           4
        .value_kind:     hidden_block_count_z
      - .offset:         52
        .size:           2
        .value_kind:     hidden_group_size_x
      - .offset:         54
        .size:           2
        .value_kind:     hidden_group_size_y
      - .offset:         56
        .size:           2
        .value_kind:     hidden_group_size_z
      - .offset:         58
        .size:           2
        .value_kind:     hidden_remainder_x
      - .offset:         60
        .size:           2
        .value_kind:     hidden_remainder_y
      - .offset:         62
        .size:           2
        .value_kind:     hidden_remainder_z
      - .offset:         80
        .size:           8
        .value_kind:     hidden_global_offset_x
      - .offset:         88
        .size:           8
        .value_kind:     hidden_global_offset_y
      - .offset:         96
        .size:           8
        .value_kind:     hidden_global_offset_z
      - .offset:         104
        .size:           2
        .value_kind:     hidden_grid_dims
    .group_segment_fixed_size: 0
    .kernarg_segment_align: 8
    .kernarg_segment_size: 296
    .language:       OpenCL C
    .language_version:
      - 2
      - 0
    .max_flat_workgroup_size: 1024
    .name:           _Z11cool_kernelidPKdPdi
    .private_segment_fixed_size: 20
    .sgpr_count:     88
    .sgpr_spill_count: 0
    .symbol:         _Z11cool_kernelidPKdPdi.kd
    .uniform_work_group_size: 1
    .uses_dynamic_stack: false
    .vgpr_count:     64
    .vgpr_spill_count: 4
    .wavefront_size: 64
amdhsa.target:   amdgcn-amd-amdhsa--gfx906
amdhsa.version:
  - 1
  - 2
...

	.end_amdgpu_metadata
